;; amdgpu-corpus repo=ROCm/rocFFT kind=compiled arch=gfx1100 opt=O3
	.text
	.amdgcn_target "amdgcn-amd-amdhsa--gfx1100"
	.amdhsa_code_object_version 6
	.protected	fft_rtc_fwd_len1352_factors_2_13_13_4_wgs_52_tpt_52_halfLds_dp_op_CI_CI_unitstride_sbrr_R2C_dirReg ; -- Begin function fft_rtc_fwd_len1352_factors_2_13_13_4_wgs_52_tpt_52_halfLds_dp_op_CI_CI_unitstride_sbrr_R2C_dirReg
	.globl	fft_rtc_fwd_len1352_factors_2_13_13_4_wgs_52_tpt_52_halfLds_dp_op_CI_CI_unitstride_sbrr_R2C_dirReg
	.p2align	8
	.type	fft_rtc_fwd_len1352_factors_2_13_13_4_wgs_52_tpt_52_halfLds_dp_op_CI_CI_unitstride_sbrr_R2C_dirReg,@function
fft_rtc_fwd_len1352_factors_2_13_13_4_wgs_52_tpt_52_halfLds_dp_op_CI_CI_unitstride_sbrr_R2C_dirReg: ; @fft_rtc_fwd_len1352_factors_2_13_13_4_wgs_52_tpt_52_halfLds_dp_op_CI_CI_unitstride_sbrr_R2C_dirReg
; %bb.0:
	s_clause 0x2
	s_load_b128 s[8:11], s[0:1], 0x0
	s_load_b128 s[4:7], s[0:1], 0x58
	;; [unrolled: 1-line block ×3, first 2 shown]
	v_mul_u32_u24_e32 v1, 0x4ed, v0
	v_mov_b32_e32 v3, 0
	s_delay_alu instid0(VALU_DEP_2) | instskip(NEXT) | instid1(VALU_DEP_1)
	v_lshrrev_b32_e32 v1, 16, v1
	v_add_nc_u32_e32 v5, s15, v1
	v_mov_b32_e32 v1, 0
	v_mov_b32_e32 v2, 0
	;; [unrolled: 1-line block ×3, first 2 shown]
	s_waitcnt lgkmcnt(0)
	v_cmp_lt_u64_e64 s2, s[10:11], 2
	s_delay_alu instid0(VALU_DEP_1)
	s_and_b32 vcc_lo, exec_lo, s2
	s_cbranch_vccnz .LBB0_8
; %bb.1:
	s_load_b64 s[2:3], s[0:1], 0x10
	v_mov_b32_e32 v1, 0
	v_mov_b32_e32 v2, 0
	s_add_u32 s12, s18, 8
	s_addc_u32 s13, s19, 0
	s_add_u32 s14, s16, 8
	s_addc_u32 s15, s17, 0
	v_dual_mov_b32 v115, v2 :: v_dual_mov_b32 v114, v1
	s_mov_b64 s[22:23], 1
	s_waitcnt lgkmcnt(0)
	s_add_u32 s20, s2, 8
	s_addc_u32 s21, s3, 0
.LBB0_2:                                ; =>This Inner Loop Header: Depth=1
	s_load_b64 s[24:25], s[20:21], 0x0
                                        ; implicit-def: $vgpr118_vgpr119
	s_mov_b32 s2, exec_lo
	s_waitcnt lgkmcnt(0)
	v_or_b32_e32 v4, s25, v6
	s_delay_alu instid0(VALU_DEP_1)
	v_cmpx_ne_u64_e32 0, v[3:4]
	s_xor_b32 s3, exec_lo, s2
	s_cbranch_execz .LBB0_4
; %bb.3:                                ;   in Loop: Header=BB0_2 Depth=1
	v_cvt_f32_u32_e32 v4, s24
	v_cvt_f32_u32_e32 v7, s25
	s_sub_u32 s2, 0, s24
	s_subb_u32 s26, 0, s25
	s_delay_alu instid0(VALU_DEP_1) | instskip(NEXT) | instid1(VALU_DEP_1)
	v_fmac_f32_e32 v4, 0x4f800000, v7
	v_rcp_f32_e32 v4, v4
	s_waitcnt_depctr 0xfff
	v_mul_f32_e32 v4, 0x5f7ffffc, v4
	s_delay_alu instid0(VALU_DEP_1) | instskip(NEXT) | instid1(VALU_DEP_1)
	v_mul_f32_e32 v7, 0x2f800000, v4
	v_trunc_f32_e32 v7, v7
	s_delay_alu instid0(VALU_DEP_1) | instskip(SKIP_1) | instid1(VALU_DEP_2)
	v_fmac_f32_e32 v4, 0xcf800000, v7
	v_cvt_u32_f32_e32 v7, v7
	v_cvt_u32_f32_e32 v4, v4
	s_delay_alu instid0(VALU_DEP_2) | instskip(NEXT) | instid1(VALU_DEP_2)
	v_mul_lo_u32 v8, s2, v7
	v_mul_hi_u32 v9, s2, v4
	v_mul_lo_u32 v10, s26, v4
	s_delay_alu instid0(VALU_DEP_2) | instskip(SKIP_1) | instid1(VALU_DEP_2)
	v_add_nc_u32_e32 v8, v9, v8
	v_mul_lo_u32 v9, s2, v4
	v_add_nc_u32_e32 v8, v8, v10
	s_delay_alu instid0(VALU_DEP_2) | instskip(NEXT) | instid1(VALU_DEP_2)
	v_mul_hi_u32 v10, v4, v9
	v_mul_lo_u32 v11, v4, v8
	v_mul_hi_u32 v12, v4, v8
	v_mul_hi_u32 v13, v7, v9
	v_mul_lo_u32 v9, v7, v9
	v_mul_hi_u32 v14, v7, v8
	v_mul_lo_u32 v8, v7, v8
	v_add_co_u32 v10, vcc_lo, v10, v11
	v_add_co_ci_u32_e32 v11, vcc_lo, 0, v12, vcc_lo
	s_delay_alu instid0(VALU_DEP_2) | instskip(NEXT) | instid1(VALU_DEP_2)
	v_add_co_u32 v9, vcc_lo, v10, v9
	v_add_co_ci_u32_e32 v9, vcc_lo, v11, v13, vcc_lo
	v_add_co_ci_u32_e32 v10, vcc_lo, 0, v14, vcc_lo
	s_delay_alu instid0(VALU_DEP_2) | instskip(NEXT) | instid1(VALU_DEP_2)
	v_add_co_u32 v8, vcc_lo, v9, v8
	v_add_co_ci_u32_e32 v9, vcc_lo, 0, v10, vcc_lo
	s_delay_alu instid0(VALU_DEP_2) | instskip(NEXT) | instid1(VALU_DEP_2)
	v_add_co_u32 v4, vcc_lo, v4, v8
	v_add_co_ci_u32_e32 v7, vcc_lo, v7, v9, vcc_lo
	s_delay_alu instid0(VALU_DEP_2) | instskip(SKIP_1) | instid1(VALU_DEP_3)
	v_mul_hi_u32 v8, s2, v4
	v_mul_lo_u32 v10, s26, v4
	v_mul_lo_u32 v9, s2, v7
	s_delay_alu instid0(VALU_DEP_1) | instskip(SKIP_1) | instid1(VALU_DEP_2)
	v_add_nc_u32_e32 v8, v8, v9
	v_mul_lo_u32 v9, s2, v4
	v_add_nc_u32_e32 v8, v8, v10
	s_delay_alu instid0(VALU_DEP_2) | instskip(NEXT) | instid1(VALU_DEP_2)
	v_mul_hi_u32 v10, v4, v9
	v_mul_lo_u32 v11, v4, v8
	v_mul_hi_u32 v12, v4, v8
	v_mul_hi_u32 v13, v7, v9
	v_mul_lo_u32 v9, v7, v9
	v_mul_hi_u32 v14, v7, v8
	v_mul_lo_u32 v8, v7, v8
	v_add_co_u32 v10, vcc_lo, v10, v11
	v_add_co_ci_u32_e32 v11, vcc_lo, 0, v12, vcc_lo
	s_delay_alu instid0(VALU_DEP_2) | instskip(NEXT) | instid1(VALU_DEP_2)
	v_add_co_u32 v9, vcc_lo, v10, v9
	v_add_co_ci_u32_e32 v9, vcc_lo, v11, v13, vcc_lo
	v_add_co_ci_u32_e32 v10, vcc_lo, 0, v14, vcc_lo
	s_delay_alu instid0(VALU_DEP_2) | instskip(NEXT) | instid1(VALU_DEP_2)
	v_add_co_u32 v8, vcc_lo, v9, v8
	v_add_co_ci_u32_e32 v9, vcc_lo, 0, v10, vcc_lo
	s_delay_alu instid0(VALU_DEP_2) | instskip(NEXT) | instid1(VALU_DEP_2)
	v_add_co_u32 v4, vcc_lo, v4, v8
	v_add_co_ci_u32_e32 v13, vcc_lo, v7, v9, vcc_lo
	s_delay_alu instid0(VALU_DEP_2) | instskip(SKIP_1) | instid1(VALU_DEP_3)
	v_mul_hi_u32 v14, v5, v4
	v_mad_u64_u32 v[9:10], null, v6, v4, 0
	v_mad_u64_u32 v[7:8], null, v5, v13, 0
	;; [unrolled: 1-line block ×3, first 2 shown]
	s_delay_alu instid0(VALU_DEP_2) | instskip(NEXT) | instid1(VALU_DEP_3)
	v_add_co_u32 v4, vcc_lo, v14, v7
	v_add_co_ci_u32_e32 v7, vcc_lo, 0, v8, vcc_lo
	s_delay_alu instid0(VALU_DEP_2) | instskip(NEXT) | instid1(VALU_DEP_2)
	v_add_co_u32 v4, vcc_lo, v4, v9
	v_add_co_ci_u32_e32 v4, vcc_lo, v7, v10, vcc_lo
	v_add_co_ci_u32_e32 v7, vcc_lo, 0, v12, vcc_lo
	s_delay_alu instid0(VALU_DEP_2) | instskip(NEXT) | instid1(VALU_DEP_2)
	v_add_co_u32 v4, vcc_lo, v4, v11
	v_add_co_ci_u32_e32 v9, vcc_lo, 0, v7, vcc_lo
	s_delay_alu instid0(VALU_DEP_2) | instskip(SKIP_1) | instid1(VALU_DEP_3)
	v_mul_lo_u32 v10, s25, v4
	v_mad_u64_u32 v[7:8], null, s24, v4, 0
	v_mul_lo_u32 v11, s24, v9
	s_delay_alu instid0(VALU_DEP_2) | instskip(NEXT) | instid1(VALU_DEP_2)
	v_sub_co_u32 v7, vcc_lo, v5, v7
	v_add3_u32 v8, v8, v11, v10
	s_delay_alu instid0(VALU_DEP_1) | instskip(NEXT) | instid1(VALU_DEP_1)
	v_sub_nc_u32_e32 v10, v6, v8
	v_subrev_co_ci_u32_e64 v10, s2, s25, v10, vcc_lo
	v_add_co_u32 v11, s2, v4, 2
	s_delay_alu instid0(VALU_DEP_1) | instskip(SKIP_3) | instid1(VALU_DEP_3)
	v_add_co_ci_u32_e64 v12, s2, 0, v9, s2
	v_sub_co_u32 v13, s2, v7, s24
	v_sub_co_ci_u32_e32 v8, vcc_lo, v6, v8, vcc_lo
	v_subrev_co_ci_u32_e64 v10, s2, 0, v10, s2
	v_cmp_le_u32_e32 vcc_lo, s24, v13
	s_delay_alu instid0(VALU_DEP_3) | instskip(SKIP_1) | instid1(VALU_DEP_4)
	v_cmp_eq_u32_e64 s2, s25, v8
	v_cndmask_b32_e64 v13, 0, -1, vcc_lo
	v_cmp_le_u32_e32 vcc_lo, s25, v10
	v_cndmask_b32_e64 v14, 0, -1, vcc_lo
	v_cmp_le_u32_e32 vcc_lo, s24, v7
	;; [unrolled: 2-line block ×3, first 2 shown]
	v_cndmask_b32_e64 v15, 0, -1, vcc_lo
	v_cmp_eq_u32_e32 vcc_lo, s25, v10
	s_delay_alu instid0(VALU_DEP_2) | instskip(SKIP_3) | instid1(VALU_DEP_3)
	v_cndmask_b32_e64 v7, v15, v7, s2
	v_cndmask_b32_e32 v10, v14, v13, vcc_lo
	v_add_co_u32 v13, vcc_lo, v4, 1
	v_add_co_ci_u32_e32 v14, vcc_lo, 0, v9, vcc_lo
	v_cmp_ne_u32_e32 vcc_lo, 0, v10
	s_delay_alu instid0(VALU_DEP_2) | instskip(NEXT) | instid1(VALU_DEP_4)
	v_cndmask_b32_e32 v8, v14, v12, vcc_lo
	v_cndmask_b32_e32 v10, v13, v11, vcc_lo
	v_cmp_ne_u32_e32 vcc_lo, 0, v7
	s_delay_alu instid0(VALU_DEP_2)
	v_dual_cndmask_b32 v119, v9, v8 :: v_dual_cndmask_b32 v118, v4, v10
.LBB0_4:                                ;   in Loop: Header=BB0_2 Depth=1
	s_and_not1_saveexec_b32 s2, s3
	s_cbranch_execz .LBB0_6
; %bb.5:                                ;   in Loop: Header=BB0_2 Depth=1
	v_cvt_f32_u32_e32 v4, s24
	s_sub_i32 s3, 0, s24
	v_mov_b32_e32 v119, v3
	s_delay_alu instid0(VALU_DEP_2) | instskip(SKIP_2) | instid1(VALU_DEP_1)
	v_rcp_iflag_f32_e32 v4, v4
	s_waitcnt_depctr 0xfff
	v_mul_f32_e32 v4, 0x4f7ffffe, v4
	v_cvt_u32_f32_e32 v4, v4
	s_delay_alu instid0(VALU_DEP_1) | instskip(NEXT) | instid1(VALU_DEP_1)
	v_mul_lo_u32 v7, s3, v4
	v_mul_hi_u32 v7, v4, v7
	s_delay_alu instid0(VALU_DEP_1) | instskip(NEXT) | instid1(VALU_DEP_1)
	v_add_nc_u32_e32 v4, v4, v7
	v_mul_hi_u32 v4, v5, v4
	s_delay_alu instid0(VALU_DEP_1) | instskip(SKIP_1) | instid1(VALU_DEP_2)
	v_mul_lo_u32 v7, v4, s24
	v_add_nc_u32_e32 v8, 1, v4
	v_sub_nc_u32_e32 v7, v5, v7
	s_delay_alu instid0(VALU_DEP_1) | instskip(SKIP_1) | instid1(VALU_DEP_2)
	v_subrev_nc_u32_e32 v9, s24, v7
	v_cmp_le_u32_e32 vcc_lo, s24, v7
	v_dual_cndmask_b32 v7, v7, v9 :: v_dual_cndmask_b32 v4, v4, v8
	s_delay_alu instid0(VALU_DEP_1) | instskip(NEXT) | instid1(VALU_DEP_2)
	v_cmp_le_u32_e32 vcc_lo, s24, v7
	v_add_nc_u32_e32 v8, 1, v4
	s_delay_alu instid0(VALU_DEP_1)
	v_cndmask_b32_e32 v118, v4, v8, vcc_lo
.LBB0_6:                                ;   in Loop: Header=BB0_2 Depth=1
	s_or_b32 exec_lo, exec_lo, s2
	s_delay_alu instid0(VALU_DEP_1) | instskip(NEXT) | instid1(VALU_DEP_2)
	v_mul_lo_u32 v4, v119, s24
	v_mul_lo_u32 v9, v118, s25
	s_load_b64 s[2:3], s[14:15], 0x0
	v_mad_u64_u32 v[7:8], null, v118, s24, 0
	s_load_b64 s[24:25], s[12:13], 0x0
	s_add_u32 s22, s22, 1
	s_addc_u32 s23, s23, 0
	s_add_u32 s12, s12, 8
	s_addc_u32 s13, s13, 0
	s_add_u32 s14, s14, 8
	s_delay_alu instid0(VALU_DEP_1) | instskip(SKIP_3) | instid1(VALU_DEP_2)
	v_add3_u32 v4, v8, v9, v4
	v_sub_co_u32 v8, vcc_lo, v5, v7
	s_addc_u32 s15, s15, 0
	s_add_u32 s20, s20, 8
	v_sub_co_ci_u32_e32 v6, vcc_lo, v6, v4, vcc_lo
	s_addc_u32 s21, s21, 0
	s_waitcnt lgkmcnt(0)
	s_delay_alu instid0(VALU_DEP_1)
	v_mul_lo_u32 v9, s2, v6
	v_mul_lo_u32 v10, s3, v8
	v_mad_u64_u32 v[4:5], null, s2, v8, v[1:2]
	v_mul_lo_u32 v11, s24, v6
	v_mul_lo_u32 v12, s25, v8
	v_mad_u64_u32 v[6:7], null, s24, v8, v[114:115]
	v_cmp_ge_u64_e64 s2, s[22:23], s[10:11]
	v_add3_u32 v2, v10, v5, v9
	s_delay_alu instid0(VALU_DEP_3) | instskip(NEXT) | instid1(VALU_DEP_4)
	v_dual_mov_b32 v1, v4 :: v_dual_mov_b32 v114, v6
	v_add3_u32 v115, v12, v7, v11
	s_delay_alu instid0(VALU_DEP_4)
	s_and_b32 vcc_lo, exec_lo, s2
	s_cbranch_vccnz .LBB0_9
; %bb.7:                                ;   in Loop: Header=BB0_2 Depth=1
	v_dual_mov_b32 v5, v118 :: v_dual_mov_b32 v6, v119
	s_branch .LBB0_2
.LBB0_8:
	v_dual_mov_b32 v115, v2 :: v_dual_mov_b32 v114, v1
	v_dual_mov_b32 v119, v6 :: v_dual_mov_b32 v118, v5
.LBB0_9:
	s_load_b64 s[0:1], s[0:1], 0x28
	v_mul_hi_u32 v3, 0x4ec4ec5, v0
	s_lshl_b64 s[10:11], s[10:11], 3
                                        ; implicit-def: $vgpr112
                                        ; implicit-def: $vgpr116
                                        ; implicit-def: $vgpr127
                                        ; implicit-def: $vgpr126
                                        ; implicit-def: $vgpr125
                                        ; implicit-def: $vgpr124
                                        ; implicit-def: $vgpr123
                                        ; implicit-def: $vgpr122
                                        ; implicit-def: $vgpr106
                                        ; implicit-def: $vgpr105
	s_delay_alu instid0(SALU_CYCLE_1) | instskip(SKIP_4) | instid1(VALU_DEP_1)
	s_add_u32 s2, s18, s10
	s_addc_u32 s3, s19, s11
	s_waitcnt lgkmcnt(0)
	v_cmp_gt_u64_e32 vcc_lo, s[0:1], v[118:119]
	v_cmp_le_u64_e64 s0, s[0:1], v[118:119]
	s_and_saveexec_b32 s1, s0
	s_delay_alu instid0(SALU_CYCLE_1)
	s_xor_b32 s0, exec_lo, s1
; %bb.10:
	v_mul_u32_u24_e32 v1, 52, v3
                                        ; implicit-def: $vgpr3
	s_delay_alu instid0(VALU_DEP_1) | instskip(NEXT) | instid1(VALU_DEP_1)
	v_sub_nc_u32_e32 v112, v0, v1
                                        ; implicit-def: $vgpr0
                                        ; implicit-def: $vgpr1_vgpr2
	v_add_nc_u32_e32 v116, 52, v112
	v_add_nc_u32_e32 v127, 0x68, v112
	;; [unrolled: 1-line block ×9, first 2 shown]
; %bb.11:
	s_and_not1_saveexec_b32 s1, s0
	s_cbranch_execz .LBB0_13
; %bb.12:
	s_add_u32 s10, s16, s10
	s_addc_u32 s11, s17, s11
	v_lshlrev_b64 v[1:2], 4, v[1:2]
	s_load_b64 s[10:11], s[10:11], 0x0
	s_waitcnt lgkmcnt(0)
	v_mul_lo_u32 v6, s11, v118
	v_mul_lo_u32 v7, s10, v119
	v_mad_u64_u32 v[4:5], null, s10, v118, 0
	s_delay_alu instid0(VALU_DEP_1) | instskip(SKIP_1) | instid1(VALU_DEP_2)
	v_add3_u32 v5, v5, v7, v6
	v_mul_u32_u24_e32 v6, 52, v3
	v_lshlrev_b64 v[3:4], 4, v[4:5]
	s_delay_alu instid0(VALU_DEP_2) | instskip(NEXT) | instid1(VALU_DEP_1)
	v_sub_nc_u32_e32 v112, v0, v6
	v_lshlrev_b32_e32 v104, 4, v112
	s_delay_alu instid0(VALU_DEP_3) | instskip(NEXT) | instid1(VALU_DEP_1)
	v_add_co_u32 v0, s0, s4, v3
	v_add_co_ci_u32_e64 v3, s0, s5, v4, s0
	v_add_nc_u32_e32 v116, 52, v112
	s_delay_alu instid0(VALU_DEP_3) | instskip(NEXT) | instid1(VALU_DEP_1)
	v_add_co_u32 v0, s0, v0, v1
	v_add_co_ci_u32_e64 v1, s0, v3, v2, s0
	v_or_b32_e32 v2, 0x3400, v104
	s_delay_alu instid0(VALU_DEP_3) | instskip(NEXT) | instid1(VALU_DEP_1)
	v_add_co_u32 v16, s0, v0, v104
	v_add_co_ci_u32_e64 v17, s0, 0, v1, s0
	s_delay_alu instid0(VALU_DEP_3) | instskip(NEXT) | instid1(VALU_DEP_1)
	v_add_co_u32 v64, s0, v0, v2
	v_add_co_ci_u32_e64 v65, s0, 0, v1, s0
	s_delay_alu instid0(VALU_DEP_4) | instskip(NEXT) | instid1(VALU_DEP_1)
	v_add_co_u32 v36, s0, 0x1000, v16
	v_add_co_ci_u32_e64 v37, s0, 0, v17, s0
	v_add_co_u32 v56, s0, 0x2000, v16
	s_delay_alu instid0(VALU_DEP_1) | instskip(SKIP_1) | instid1(VALU_DEP_1)
	v_add_co_ci_u32_e64 v57, s0, 0, v17, s0
	v_add_co_u32 v76, s0, 0x3000, v16
	v_add_co_ci_u32_e64 v77, s0, 0, v17, s0
	v_add_co_u32 v96, s0, 0x4000, v16
	s_delay_alu instid0(VALU_DEP_1) | instskip(SKIP_1) | instid1(VALU_DEP_1)
	v_add_co_ci_u32_e64 v97, s0, 0, v17, s0
	v_add_co_u32 v100, s0, 0x5000, v16
	v_add_co_ci_u32_e64 v101, s0, 0, v17, s0
	s_clause 0x19
	global_load_b128 v[0:3], v[16:17], off
	global_load_b128 v[4:7], v[16:17], off offset:832
	global_load_b128 v[8:11], v[16:17], off offset:1664
	;; [unrolled: 1-line block ×15, first 2 shown]
	global_load_b128 v[64:67], v[64:65], off
	global_load_b128 v[68:71], v[76:77], off offset:1856
	global_load_b128 v[72:75], v[76:77], off offset:2688
	;; [unrolled: 1-line block ×9, first 2 shown]
	v_add_nc_u32_e32 v127, 0x68, v112
	v_add_nc_u32_e32 v126, 0x9c, v112
	;; [unrolled: 1-line block ×9, first 2 shown]
	s_waitcnt vmcnt(25)
	ds_store_b128 v104, v[0:3]
	s_waitcnt vmcnt(24)
	ds_store_b128 v104, v[4:7] offset:832
	s_waitcnt vmcnt(23)
	ds_store_b128 v104, v[8:11] offset:1664
	;; [unrolled: 2-line block ×25, first 2 shown]
.LBB0_13:
	s_or_b32 exec_lo, exec_lo, s1
	v_lshl_add_u32 v130, v112, 4, 0
	s_load_b64 s[2:3], s[2:3], 0x0
	s_waitcnt lgkmcnt(0)
	s_barrier
	buffer_gl0_inv
	ds_load_b128 v[4:7], v130 offset:10816
	ds_load_b128 v[8:11], v130
	ds_load_b128 v[12:15], v130 offset:832
	ds_load_b128 v[0:3], v130 offset:9984
	v_lshl_add_u32 v32, v112, 5, 0
	v_lshl_add_u32 v111, v123, 5, 0
	;; [unrolled: 1-line block ×5, first 2 shown]
	v_lshlrev_b32_e32 v117, 4, v123
	s_mov_b32 s42, 0x4267c47c
	s_mov_b32 s24, 0x42a4c3d2
	s_mov_b32 s26, 0x66966769
	s_mov_b32 s20, 0x2ef20147
	v_sub_nc_u32_e32 v255, v111, v117
	s_mov_b32 s22, 0x24c2f84
	s_mov_b32 s34, 0x4bc48dbf
	;; [unrolled: 1-line block ×6, first 2 shown]
	s_waitcnt lgkmcnt(2)
	v_add_f64 v[33:34], v[8:9], -v[4:5]
	v_add_f64 v[35:36], v[10:11], -v[6:7]
	ds_load_b128 v[4:7], v130 offset:11648
	ds_load_b128 v[37:40], v130 offset:12480
	s_mov_b32 s23, 0xbfe5384d
	s_mov_b32 s35, 0xbfcea1e5
	;; [unrolled: 1-line block ×18, first 2 shown]
	s_waitcnt lgkmcnt(1)
	v_add_f64 v[41:42], v[12:13], -v[4:5]
	v_add_f64 v[43:44], v[14:15], -v[6:7]
	s_mov_b32 s31, 0x3fddbe06
	s_mov_b32 s30, s42
	;; [unrolled: 1-line block ×8, first 2 shown]
	v_subrev_nc_u32_e32 v113, 26, v112
	v_cmp_gt_u32_e64 s0, 26, v112
	v_fma_f64 v[45:46], v[8:9], 2.0, -v[33:34]
	v_fma_f64 v[47:48], v[10:11], 2.0, -v[35:36]
	v_fma_f64 v[49:50], v[12:13], 2.0, -v[41:42]
	v_fma_f64 v[51:52], v[14:15], 2.0, -v[43:44]
	ds_load_b128 v[53:56], v130 offset:1664
	ds_load_b128 v[57:60], v130 offset:2496
	;; [unrolled: 1-line block ×20, first 2 shown]
	s_waitcnt lgkmcnt(0)
	s_barrier
	buffer_gl0_inv
	ds_store_b128 v32, v[33:36] offset:16
	ds_store_b128 v32, v[45:48]
	v_lshl_add_u32 v33, v116, 5, 0
	v_add_f64 v[35:36], v[55:56], -v[39:40]
	v_add_f64 v[45:46], v[8:9], -v[93:94]
	;; [unrolled: 1-line block ×5, first 2 shown]
	ds_store_b128 v33, v[41:44] offset:16
	ds_store_b128 v33, v[49:52]
	v_add_f64 v[33:34], v[53:54], -v[37:38]
	v_lshl_add_u32 v41, v127, 5, 0
	v_add_f64 v[43:44], v[22:23], -v[91:92]
	v_add_f64 v[49:50], v[24:25], -v[97:98]
	v_add_f64 v[51:52], v[26:27], -v[99:100]
	v_fma_f64 v[39:40], v[55:56], 2.0, -v[35:36]
	v_add_f64 v[55:56], v[14:15], -v[103:104]
	v_fma_f64 v[8:9], v[8:9], 2.0, -v[45:46]
	v_fma_f64 v[10:11], v[10:11], 2.0, -v[47:48]
	;; [unrolled: 1-line block ×5, first 2 shown]
	v_add_f64 v[53:54], v[12:13], -v[101:102]
	v_fma_f64 v[22:23], v[22:23], 2.0, -v[43:44]
	v_fma_f64 v[24:25], v[24:25], 2.0, -v[49:50]
	v_fma_f64 v[26:27], v[26:27], 2.0, -v[51:52]
	ds_store_b128 v41, v[33:36] offset:16
	ds_store_b128 v41, v[37:40]
	v_add_f64 v[33:34], v[57:58], -v[61:62]
	v_add_f64 v[35:36], v[59:60], -v[63:64]
	v_lshl_add_u32 v41, v126, 5, 0
	v_fma_f64 v[12:13], v[12:13], 2.0, -v[53:54]
	v_fma_f64 v[14:15], v[14:15], 2.0, -v[55:56]
	;; [unrolled: 1-line block ×4, first 2 shown]
	v_lshl_add_u32 v57, v106, 5, 0
	ds_store_b128 v41, v[33:36] offset:16
	ds_store_b128 v41, v[37:40]
	v_add_f64 v[33:34], v[69:70], -v[65:66]
	v_add_f64 v[35:36], v[71:72], -v[67:68]
	v_lshl_add_u32 v41, v125, 5, 0
	s_delay_alu instid0(VALU_DEP_3) | instskip(NEXT) | instid1(VALU_DEP_3)
	v_fma_f64 v[37:38], v[69:70], 2.0, -v[33:34]
	v_fma_f64 v[39:40], v[71:72], 2.0, -v[35:36]
	ds_store_b128 v41, v[33:36] offset:16
	ds_store_b128 v41, v[37:40]
	v_add_f64 v[33:34], v[73:74], -v[77:78]
	v_add_f64 v[35:36], v[75:76], -v[79:80]
	v_lshl_add_u32 v41, v124, 5, 0
	s_delay_alu instid0(VALU_DEP_3) | instskip(NEXT) | instid1(VALU_DEP_3)
	v_fma_f64 v[37:38], v[73:74], 2.0, -v[33:34]
	v_fma_f64 v[39:40], v[75:76], 2.0, -v[35:36]
	ds_store_b128 v41, v[33:36] offset:16
	ds_store_b128 v41, v[37:40]
	v_add_f64 v[33:34], v[16:17], -v[81:82]
	v_add_f64 v[35:36], v[18:19], -v[83:84]
	;; [unrolled: 1-line block ×5, first 2 shown]
	v_and_b32_e32 v82, 1, v112
	v_fma_f64 v[16:17], v[16:17], 2.0, -v[33:34]
	v_fma_f64 v[18:19], v[18:19], 2.0, -v[35:36]
	;; [unrolled: 1-line block ×5, first 2 shown]
	ds_store_b128 v111, v[16:19]
	ds_store_b128 v111, v[33:36] offset:16
	ds_store_b128 v32, v[4:7] offset:11648
	;; [unrolled: 1-line block ×3, first 2 shown]
	v_lshl_add_u32 v34, v122, 5, 0
	v_mul_u32_u24_e32 v4, 12, v82
	ds_store_b128 v34, v[20:23]
	ds_store_b128 v34, v[41:44] offset:16
	ds_store_b128 v32, v[8:11] offset:14976
	;; [unrolled: 1-line block ×3, first 2 shown]
	ds_store_b128 v57, v[24:27]
	ds_store_b128 v57, v[49:52] offset:16
	v_lshl_add_u32 v50, v105, 5, 0
	v_lshlrev_b32_e32 v60, 4, v4
	ds_store_b128 v32, v[12:15] offset:18304
	ds_store_b128 v32, v[53:56] offset:18320
	ds_store_b128 v50, v[0:3]
	ds_store_b128 v50, v[28:31] offset:16
	s_waitcnt lgkmcnt(0)
	s_barrier
	buffer_gl0_inv
	s_clause 0x1
	global_load_b128 v[12:15], v60, s[8:9]
	global_load_b128 v[0:3], v60, s[8:9] offset:16
	ds_load_b128 v[8:11], v134
	ds_load_b128 v[4:7], v130 offset:20800
	s_waitcnt vmcnt(1) lgkmcnt(1)
	v_mul_f64 v[16:17], v[10:11], v[14:15]
	s_delay_alu instid0(VALU_DEP_1) | instskip(SKIP_1) | instid1(VALU_DEP_1)
	v_fma_f64 v[20:21], v[8:9], v[12:13], -v[16:17]
	v_mul_f64 v[8:9], v[8:9], v[14:15]
	v_fma_f64 v[22:23], v[10:11], v[12:13], v[8:9]
	ds_load_b128 v[24:27], v130 offset:2496
	ds_load_b128 v[8:11], v130
	s_waitcnt lgkmcnt(1)
	v_mul_f64 v[16:17], v[26:27], v[14:15]
	v_mul_f64 v[14:15], v[24:25], v[14:15]
	s_waitcnt lgkmcnt(0)
	v_add_f64 v[187:188], v[8:9], v[20:21]
	v_add_f64 v[189:190], v[10:11], v[22:23]
	s_delay_alu instid0(VALU_DEP_4) | instskip(NEXT) | instid1(VALU_DEP_4)
	v_fma_f64 v[16:17], v[24:25], v[12:13], -v[16:17]
	v_fma_f64 v[18:19], v[26:27], v[12:13], v[14:15]
	ds_load_b128 v[24:27], v135
	ds_load_b128 v[12:15], v136
	s_waitcnt vmcnt(0) lgkmcnt(1)
	v_mul_f64 v[28:29], v[26:27], v[2:3]
	s_delay_alu instid0(VALU_DEP_1) | instskip(SKIP_1) | instid1(VALU_DEP_1)
	v_fma_f64 v[68:69], v[24:25], v[0:1], -v[28:29]
	v_mul_f64 v[24:25], v[24:25], v[2:3]
	v_fma_f64 v[70:71], v[26:27], v[0:1], v[24:25]
	ds_load_b128 v[26:29], v130 offset:4160
	ds_load_b128 v[30:33], v130 offset:5824
	scratch_store_b32 off, v34, off offset:24 ; 4-byte Folded Spill
	s_waitcnt lgkmcnt(1)
	v_mul_f64 v[24:25], v[28:29], v[2:3]
	v_mul_f64 v[2:3], v[26:27], v[2:3]
	s_delay_alu instid0(VALU_DEP_2) | instskip(NEXT) | instid1(VALU_DEP_2)
	v_fma_f64 v[24:25], v[26:27], v[0:1], -v[24:25]
	v_fma_f64 v[26:27], v[28:29], v[0:1], v[2:3]
	v_lshlrev_b32_e32 v0, 4, v122
	s_delay_alu instid0(VALU_DEP_1)
	v_sub_nc_u32_e32 v133, v34, v0
	s_clause 0x1
	global_load_b128 v[34:37], v60, s[8:9] offset:32
	global_load_b128 v[38:41], v60, s[8:9] offset:48
	ds_load_b128 v[42:45], v255
	ds_load_b128 v[46:49], v133
	s_waitcnt vmcnt(1) lgkmcnt(2)
	v_mul_f64 v[28:29], v[32:33], v[36:37]
	s_waitcnt lgkmcnt(1)
	v_mul_f64 v[0:1], v[44:45], v[36:37]
	v_mul_f64 v[2:3], v[42:43], v[36:37]
	s_delay_alu instid0(VALU_DEP_3) | instskip(SKIP_1) | instid1(VALU_DEP_4)
	v_fma_f64 v[28:29], v[30:31], v[34:35], -v[28:29]
	v_mul_f64 v[30:31], v[30:31], v[36:37]
	v_fma_f64 v[0:1], v[42:43], v[34:35], -v[0:1]
	s_delay_alu instid0(VALU_DEP_4) | instskip(NEXT) | instid1(VALU_DEP_3)
	v_fma_f64 v[2:3], v[44:45], v[34:35], v[2:3]
	v_fma_f64 v[30:31], v[32:33], v[34:35], v[30:31]
	s_waitcnt vmcnt(0) lgkmcnt(0)
	v_mul_f64 v[32:33], v[48:49], v[40:41]
	ds_load_b128 v[34:37], v130 offset:7488
	ds_load_b128 v[42:45], v130 offset:9152
	v_fma_f64 v[72:73], v[46:47], v[38:39], -v[32:33]
	v_mul_f64 v[32:33], v[46:47], v[40:41]
	s_delay_alu instid0(VALU_DEP_1) | instskip(SKIP_2) | instid1(VALU_DEP_1)
	v_fma_f64 v[74:75], v[48:49], v[38:39], v[32:33]
	s_waitcnt lgkmcnt(1)
	v_mul_f64 v[32:33], v[36:37], v[40:41]
	v_fma_f64 v[32:33], v[34:35], v[38:39], -v[32:33]
	v_mul_f64 v[34:35], v[34:35], v[40:41]
	s_delay_alu instid0(VALU_DEP_1) | instskip(SKIP_3) | instid1(VALU_DEP_1)
	v_fma_f64 v[34:35], v[36:37], v[38:39], v[34:35]
	v_mov_b32_e32 v36, v106
	scratch_store_b64 off, v[36:37], off offset:8 ; 8-byte Folded Spill
	v_dual_mov_b32 v36, v105 :: v_dual_lshlrev_b32 v37, 4, v106
	v_sub_nc_u32_e32 v80, v57, v37
	scratch_store_b64 off, v[36:37], off    ; 8-byte Folded Spill
	v_lshlrev_b32_e32 v36, 4, v105
	s_clause 0x3
	scratch_store_b32 off, v57, off offset:20
	scratch_store_b32 off, v37, off offset:28
	;; [unrolled: 1-line block ×4, first 2 shown]
	s_clause 0x1
	global_load_b128 v[38:41], v60, s[8:9] offset:64
	global_load_b128 v[46:49], v60, s[8:9] offset:80
	v_sub_nc_u32_e32 v81, v50, v36
	ds_load_b128 v[50:53], v80
	ds_load_b128 v[54:57], v81
	s_waitcnt vmcnt(1) lgkmcnt(1)
	v_mul_f64 v[36:37], v[52:53], v[40:41]
	s_delay_alu instid0(VALU_DEP_1) | instskip(SKIP_1) | instid1(VALU_DEP_1)
	v_fma_f64 v[128:129], v[50:51], v[38:39], -v[36:37]
	v_mul_f64 v[36:37], v[50:51], v[40:41]
	v_fma_f64 v[147:148], v[52:53], v[38:39], v[36:37]
	v_mul_f64 v[36:37], v[44:45], v[40:41]
	v_mul_f64 v[40:41], v[42:43], v[40:41]
	s_delay_alu instid0(VALU_DEP_2) | instskip(NEXT) | instid1(VALU_DEP_2)
	v_fma_f64 v[36:37], v[42:43], v[38:39], -v[36:37]
	v_fma_f64 v[38:39], v[44:45], v[38:39], v[40:41]
	s_waitcnt vmcnt(0) lgkmcnt(0)
	v_mul_f64 v[40:41], v[56:57], v[48:49]
	ds_load_b128 v[42:45], v130 offset:10816
	ds_load_b128 v[50:53], v130 offset:11648
	v_fma_f64 v[149:150], v[54:55], v[46:47], -v[40:41]
	v_mul_f64 v[40:41], v[54:55], v[48:49]
	s_delay_alu instid0(VALU_DEP_1) | instskip(SKIP_2) | instid1(VALU_DEP_1)
	v_fma_f64 v[151:152], v[56:57], v[46:47], v[40:41]
	s_waitcnt lgkmcnt(1)
	v_mul_f64 v[40:41], v[44:45], v[48:49]
	v_fma_f64 v[40:41], v[42:43], v[46:47], -v[40:41]
	v_mul_f64 v[42:43], v[42:43], v[48:49]
	s_delay_alu instid0(VALU_DEP_1)
	v_fma_f64 v[42:43], v[44:45], v[46:47], v[42:43]
	s_clause 0x1
	global_load_b128 v[46:49], v60, s[8:9] offset:96
	global_load_b128 v[54:57], v60, s[8:9] offset:112
	s_waitcnt vmcnt(1) lgkmcnt(0)
	v_mul_f64 v[44:45], v[52:53], v[48:49]
	s_delay_alu instid0(VALU_DEP_1) | instskip(SKIP_1) | instid1(VALU_DEP_2)
	v_fma_f64 v[153:154], v[50:51], v[46:47], -v[44:45]
	v_mul_f64 v[44:45], v[50:51], v[48:49]
	v_add_f64 v[247:248], v[149:150], v[153:154]
	s_delay_alu instid0(VALU_DEP_2)
	v_fma_f64 v[155:156], v[52:53], v[46:47], v[44:45]
	ds_load_b128 v[50:53], v130 offset:12480
	ds_load_b128 v[61:64], v130 offset:13312
	v_add_f64 v[251:252], v[149:150], -v[153:154]
	s_waitcnt lgkmcnt(1)
	v_mul_f64 v[44:45], v[52:53], v[48:49]
	v_mul_f64 v[48:49], v[50:51], v[48:49]
	v_add_f64 v[245:246], v[151:152], -v[155:156]
	v_add_f64 v[253:254], v[151:152], v[155:156]
	v_mul_f64 v[137:138], v[251:252], s[34:35]
	v_fma_f64 v[44:45], v[50:51], v[46:47], -v[44:45]
	v_fma_f64 v[46:47], v[52:53], v[46:47], v[48:49]
	s_waitcnt vmcnt(0) lgkmcnt(0)
	v_mul_f64 v[48:49], v[63:64], v[56:57]
	v_mul_f64 v[249:250], v[245:246], s[34:35]
	s_delay_alu instid0(VALU_DEP_2) | instskip(SKIP_1) | instid1(VALU_DEP_2)
	v_fma_f64 v[157:158], v[61:62], v[54:55], -v[48:49]
	v_mul_f64 v[48:49], v[61:62], v[56:57]
	v_add_f64 v[235:236], v[128:129], v[157:158]
	s_delay_alu instid0(VALU_DEP_2)
	v_fma_f64 v[159:160], v[63:64], v[54:55], v[48:49]
	ds_load_b128 v[50:53], v130 offset:14144
	ds_load_b128 v[61:64], v130 offset:14976
	v_add_f64 v[239:240], v[128:129], -v[157:158]
	s_waitcnt lgkmcnt(1)
	v_mul_f64 v[48:49], v[52:53], v[56:57]
	v_add_f64 v[233:234], v[147:148], -v[159:160]
	v_add_f64 v[241:242], v[147:148], v[159:160]
	s_delay_alu instid0(VALU_DEP_4) | instskip(NEXT) | instid1(VALU_DEP_4)
	v_mul_f64 v[243:244], v[239:240], s[22:23]
	v_fma_f64 v[48:49], v[50:51], v[54:55], -v[48:49]
	v_mul_f64 v[50:51], v[50:51], v[56:57]
	v_mul_f64 v[237:238], v[233:234], s[22:23]
	s_delay_alu instid0(VALU_DEP_2)
	v_fma_f64 v[50:51], v[52:53], v[54:55], v[50:51]
	s_clause 0x1
	global_load_b128 v[54:57], v60, s[8:9] offset:128
	global_load_b128 v[83:86], v60, s[8:9] offset:144
	s_waitcnt vmcnt(1) lgkmcnt(0)
	v_mul_f64 v[52:53], v[63:64], v[56:57]
	s_delay_alu instid0(VALU_DEP_1) | instskip(SKIP_1) | instid1(VALU_DEP_2)
	v_fma_f64 v[161:162], v[61:62], v[54:55], -v[52:53]
	v_mul_f64 v[52:53], v[61:62], v[56:57]
	v_add_f64 v[223:224], v[72:73], v[161:162]
	s_delay_alu instid0(VALU_DEP_2)
	v_fma_f64 v[163:164], v[63:64], v[54:55], v[52:53]
	ds_load_b128 v[61:64], v130 offset:15808
	ds_load_b128 v[87:90], v130 offset:16640
	v_add_f64 v[227:228], v[72:73], -v[161:162]
	s_waitcnt lgkmcnt(1)
	v_mul_f64 v[52:53], v[63:64], v[56:57]
	v_mul_f64 v[56:57], v[61:62], v[56:57]
	v_add_f64 v[221:222], v[74:75], -v[163:164]
	v_add_f64 v[229:230], v[74:75], v[163:164]
	v_mul_f64 v[231:232], v[227:228], s[20:21]
	v_fma_f64 v[52:53], v[61:62], v[54:55], -v[52:53]
	v_fma_f64 v[54:55], v[63:64], v[54:55], v[56:57]
	s_waitcnt vmcnt(0) lgkmcnt(0)
	v_mul_f64 v[56:57], v[89:90], v[85:86]
	v_mul_f64 v[225:226], v[221:222], s[20:21]
	s_delay_alu instid0(VALU_DEP_2) | instskip(SKIP_1) | instid1(VALU_DEP_2)
	v_fma_f64 v[165:166], v[87:88], v[83:84], -v[56:57]
	v_mul_f64 v[56:57], v[87:88], v[85:86]
	v_add_f64 v[211:212], v[0:1], v[165:166]
	s_delay_alu instid0(VALU_DEP_2)
	v_fma_f64 v[167:168], v[89:90], v[83:84], v[56:57]
	ds_load_b128 v[61:64], v130 offset:17472
	ds_load_b128 v[87:90], v130 offset:18304
	v_add_f64 v[215:216], v[0:1], -v[165:166]
	s_waitcnt lgkmcnt(1)
	v_mul_f64 v[56:57], v[63:64], v[85:86]
	v_mul_f64 v[58:59], v[61:62], v[85:86]
	v_add_f64 v[209:210], v[2:3], -v[167:168]
	v_add_f64 v[217:218], v[2:3], v[167:168]
	v_mul_f64 v[219:220], v[215:216], s[26:27]
	v_fma_f64 v[56:57], v[61:62], v[83:84], -v[56:57]
	v_fma_f64 v[58:59], v[63:64], v[83:84], v[58:59]
	s_clause 0x1
	global_load_b128 v[62:65], v60, s[8:9] offset:160
	global_load_b128 v[83:86], v60, s[8:9] offset:176
	v_mul_f64 v[213:214], v[209:210], s[26:27]
	s_waitcnt vmcnt(1) lgkmcnt(0)
	v_mul_f64 v[60:61], v[89:90], v[64:65]
	s_delay_alu instid0(VALU_DEP_1) | instskip(SKIP_1) | instid1(VALU_DEP_2)
	v_fma_f64 v[169:170], v[87:88], v[62:63], -v[60:61]
	v_mul_f64 v[60:61], v[87:88], v[64:65]
	v_add_f64 v[199:200], v[68:69], v[169:170]
	s_delay_alu instid0(VALU_DEP_2)
	v_fma_f64 v[171:172], v[89:90], v[62:63], v[60:61]
	ds_load_b128 v[87:90], v130 offset:19136
	ds_load_b128 v[91:94], v130 offset:19968
	v_add_f64 v[203:204], v[68:69], -v[169:170]
	v_add_f64 v[68:69], v[187:188], v[68:69]
	s_waitcnt vmcnt(0) lgkmcnt(0)
	s_waitcnt_vscnt null, 0x0
	s_barrier
	buffer_gl0_inv
	v_add_f64 v[187:188], v[40:41], v[44:45]
	v_mul_f64 v[60:61], v[89:90], v[64:65]
	v_mul_f64 v[64:65], v[87:88], v[64:65]
	v_add_f64 v[197:198], v[70:71], -v[171:172]
	v_add_f64 v[205:206], v[70:71], v[171:172]
	v_mul_f64 v[207:208], v[203:204], s[24:25]
	v_add_f64 v[70:71], v[189:190], v[70:71]
	v_add_f64 v[0:1], v[68:69], v[0:1]
	v_lshrrev_b32_e32 v68, 1, v112
	s_delay_alu instid0(VALU_DEP_1) | instskip(NEXT) | instid1(VALU_DEP_1)
	v_mul_u32_u24_e32 v68, 26, v68
	v_or_b32_e32 v68, v68, v82
	v_fma_f64 v[60:61], v[87:88], v[62:63], -v[60:61]
	v_fma_f64 v[62:63], v[89:90], v[62:63], v[64:65]
	v_mul_f64 v[64:65], v[93:94], v[85:86]
	s_delay_alu instid0(VALU_DEP_4)
	v_lshl_add_u32 v68, v68, 4, 0
	v_mul_f64 v[201:202], v[197:198], s[24:25]
	v_add_f64 v[2:3], v[70:71], v[2:3]
	v_add_f64 v[0:1], v[0:1], v[72:73]
	v_fma_f64 v[173:174], v[91:92], v[83:84], -v[64:65]
	v_mul_f64 v[64:65], v[91:92], v[85:86]
	s_delay_alu instid0(VALU_DEP_4) | instskip(NEXT) | instid1(VALU_DEP_4)
	v_add_f64 v[2:3], v[2:3], v[74:75]
	v_add_f64 v[0:1], v[0:1], v[128:129]
	s_delay_alu instid0(VALU_DEP_4) | instskip(NEXT) | instid1(VALU_DEP_4)
	v_add_f64 v[91:92], v[20:21], v[173:174]
	v_fma_f64 v[175:176], v[93:94], v[83:84], v[64:65]
	v_mul_f64 v[64:65], v[6:7], v[85:86]
	v_add_f64 v[2:3], v[2:3], v[147:148]
	v_add_f64 v[0:1], v[0:1], v[149:150]
	;; [unrolled: 1-line block ×4, first 2 shown]
	v_fma_f64 v[64:65], v[4:5], v[83:84], -v[64:65]
	v_mul_f64 v[4:5], v[4:5], v[85:86]
	v_add_f64 v[2:3], v[2:3], v[151:152]
	v_add_f64 v[0:1], v[0:1], v[153:154]
	;; [unrolled: 1-line block ×3, first 2 shown]
	s_delay_alu instid0(VALU_DEP_4)
	v_fma_f64 v[66:67], v[6:7], v[83:84], v[4:5]
	v_add_f64 v[4:5], v[22:23], -v[175:176]
	v_add_f64 v[2:3], v[2:3], v[155:156]
	v_add_f64 v[0:1], v[0:1], v[157:158]
	v_add_f64 v[155:156], v[28:29], -v[56:57]
	v_add_f64 v[157:158], v[30:31], v[58:59]
	v_mul_f64 v[6:7], v[4:5], s[42:43]
	v_mul_f64 v[83:84], v[4:5], s[24:25]
	v_mul_f64 v[85:86], v[4:5], s[26:27]
	v_mul_f64 v[87:88], v[4:5], s[20:21]
	v_mul_f64 v[89:90], v[4:5], s[22:23]
	v_mul_f64 v[4:5], v[4:5], s[34:35]
	v_add_f64 v[2:3], v[2:3], v[159:160]
	v_add_f64 v[0:1], v[0:1], v[161:162]
	v_mul_f64 v[159:160], v[155:156], s[26:27]
	v_add_f64 v[161:162], v[34:35], -v[54:55]
	v_fma_f64 v[93:94], v[91:92], s[18:19], -v[6:7]
	v_fma_f64 v[6:7], v[91:92], s[18:19], v[6:7]
	v_fma_f64 v[95:96], v[91:92], s[16:17], -v[83:84]
	v_fma_f64 v[83:84], v[91:92], s[16:17], v[83:84]
	;; [unrolled: 2-line block ×6, first 2 shown]
	v_add_f64 v[91:92], v[20:21], -v[173:174]
	v_add_f64 v[2:3], v[2:3], v[163:164]
	v_add_f64 v[0:1], v[0:1], v[165:166]
	;; [unrolled: 1-line block ×3, first 2 shown]
	v_mul_f64 v[165:166], v[161:162], s[20:21]
	v_add_f64 v[6:7], v[8:9], v[6:7]
	v_add_f64 v[22:23], v[8:9], v[95:96]
	;; [unrolled: 1-line block ×8, first 2 shown]
	v_mul_f64 v[105:106], v[91:92], s[42:43]
	v_mul_f64 v[107:108], v[91:92], s[24:25]
	;; [unrolled: 1-line block ×6, first 2 shown]
	v_fma_f64 v[4:5], v[199:200], s[16:17], v[201:202]
	v_add_f64 v[2:3], v[2:3], v[167:168]
	v_add_f64 v[0:1], v[0:1], v[169:170]
	v_add_f64 v[167:168], v[32:33], -v[52:53]
	v_add_f64 v[169:170], v[34:35], v[54:55]
	v_fma_f64 v[145:146], v[143:144], s[18:19], v[105:106]
	v_fma_f64 v[105:106], v[143:144], s[18:19], -v[105:106]
	v_fma_f64 v[177:178], v[143:144], s[16:17], v[107:108]
	v_fma_f64 v[107:108], v[143:144], s[16:17], -v[107:108]
	v_fma_f64 v[179:180], v[143:144], s[14:15], v[109:110]
	v_fma_f64 v[181:182], v[143:144], s[12:13], v[139:140]
	;; [unrolled: 1-line block ×3, first 2 shown]
	v_fma_f64 v[109:110], v[143:144], s[14:15], -v[109:110]
	v_fma_f64 v[139:140], v[143:144], s[12:13], -v[139:140]
	;; [unrolled: 1-line block ×3, first 2 shown]
	v_fma_f64 v[185:186], v[143:144], s[4:5], v[91:92]
	v_fma_f64 v[91:92], v[143:144], s[4:5], -v[91:92]
	v_add_f64 v[143:144], v[8:9], v[93:94]
	v_add_f64 v[4:5], v[4:5], v[6:7]
	v_fma_f64 v[6:7], v[205:206], s[16:17], -v[207:208]
	v_add_f64 v[2:3], v[2:3], v[171:172]
	v_add_f64 v[0:1], v[0:1], v[173:174]
	v_mul_f64 v[171:172], v[167:168], s[20:21]
	v_add_f64 v[173:174], v[38:39], -v[50:51]
	v_add_f64 v[145:146], v[10:11], v[145:146]
	v_add_f64 v[20:21], v[10:11], v[105:106]
	;; [unrolled: 1-line block ×10, first 2 shown]
	v_fma_f64 v[8:9], v[211:212], s[14:15], v[213:214]
	v_mul_f64 v[85:86], v[209:210], s[34:35]
	v_add_f64 v[109:110], v[10:11], v[109:110]
	v_add_f64 v[139:140], v[10:11], v[139:140]
	;; [unrolled: 1-line block ×8, first 2 shown]
	v_mul_f64 v[20:21], v[197:198], s[20:21]
	v_add_f64 v[4:5], v[8:9], v[4:5]
	v_fma_f64 v[8:9], v[217:218], s[14:15], -v[219:220]
	v_fma_f64 v[87:88], v[211:212], s[4:5], -v[85:86]
	s_delay_alu instid0(VALU_DEP_2) | instskip(SKIP_1) | instid1(VALU_DEP_1)
	v_add_f64 v[6:7], v[8:9], v[6:7]
	v_fma_f64 v[8:9], v[223:224], s[12:13], v[225:226]
	v_add_f64 v[4:5], v[8:9], v[4:5]
	v_fma_f64 v[8:9], v[229:230], s[12:13], -v[231:232]
	s_delay_alu instid0(VALU_DEP_1) | instskip(SKIP_1) | instid1(VALU_DEP_1)
	v_add_f64 v[6:7], v[8:9], v[6:7]
	v_fma_f64 v[8:9], v[235:236], s[10:11], v[237:238]
	v_add_f64 v[4:5], v[8:9], v[4:5]
	v_fma_f64 v[8:9], v[241:242], s[10:11], -v[243:244]
	s_delay_alu instid0(VALU_DEP_1) | instskip(SKIP_1) | instid1(VALU_DEP_1)
	v_add_f64 v[6:7], v[8:9], v[6:7]
	v_fma_f64 v[8:9], v[247:248], s[4:5], v[249:250]
	v_add_f64 v[4:5], v[8:9], v[4:5]
	v_fma_f64 v[8:9], v[253:254], s[4:5], -v[137:138]
	v_fma_f64 v[137:138], v[253:254], s[4:5], v[137:138]
	s_delay_alu instid0(VALU_DEP_2) | instskip(SKIP_2) | instid1(VALU_DEP_2)
	v_add_f64 v[6:7], v[8:9], v[6:7]
	v_fma_f64 v[8:9], v[199:200], s[12:13], -v[20:21]
	v_fma_f64 v[20:21], v[199:200], s[12:13], v[20:21]
	v_add_f64 v[8:9], v[8:9], v[22:23]
	v_mul_f64 v[22:23], v[203:204], s[20:21]
	s_delay_alu instid0(VALU_DEP_3) | instskip(NEXT) | instid1(VALU_DEP_3)
	v_add_f64 v[20:21], v[20:21], v[83:84]
	v_add_f64 v[8:9], v[87:88], v[8:9]
	s_delay_alu instid0(VALU_DEP_3) | instskip(SKIP_2) | instid1(VALU_DEP_3)
	v_fma_f64 v[10:11], v[205:206], s[12:13], v[22:23]
	v_mul_f64 v[87:88], v[215:216], s[34:35]
	v_fma_f64 v[22:23], v[205:206], s[12:13], -v[22:23]
	v_add_f64 v[10:11], v[10:11], v[93:94]
	s_delay_alu instid0(VALU_DEP_3) | instskip(NEXT) | instid1(VALU_DEP_3)
	v_fma_f64 v[89:90], v[217:218], s[4:5], v[87:88]
	v_add_f64 v[22:23], v[22:23], v[95:96]
	v_mul_f64 v[95:96], v[227:228], s[30:31]
	s_delay_alu instid0(VALU_DEP_3) | instskip(SKIP_1) | instid1(VALU_DEP_1)
	v_add_f64 v[10:11], v[89:90], v[10:11]
	v_mul_f64 v[89:90], v[221:222], s[36:37]
	v_fma_f64 v[91:92], v[223:224], s[10:11], -v[89:90]
	s_delay_alu instid0(VALU_DEP_1) | instskip(SKIP_1) | instid1(VALU_DEP_1)
	v_add_f64 v[8:9], v[91:92], v[8:9]
	v_mul_f64 v[91:92], v[227:228], s[36:37]
	v_fma_f64 v[93:94], v[229:230], s[10:11], v[91:92]
	s_delay_alu instid0(VALU_DEP_1) | instskip(SKIP_1) | instid1(VALU_DEP_1)
	v_add_f64 v[10:11], v[93:94], v[10:11]
	v_mul_f64 v[93:94], v[233:234], s[28:29]
	v_fma_f64 v[103:104], v[235:236], s[14:15], -v[93:94]
	s_delay_alu instid0(VALU_DEP_1) | instskip(SKIP_1) | instid1(VALU_DEP_1)
	v_add_f64 v[8:9], v[103:104], v[8:9]
	v_mul_f64 v[103:104], v[239:240], s[28:29]
	v_fma_f64 v[131:132], v[241:242], s[14:15], v[103:104]
	s_delay_alu instid0(VALU_DEP_1) | instskip(SKIP_1) | instid1(VALU_DEP_1)
	v_add_f64 v[10:11], v[131:132], v[10:11]
	v_mul_f64 v[131:132], v[245:246], s[30:31]
	v_fma_f64 v[78:79], v[247:248], s[18:19], -v[131:132]
	s_delay_alu instid0(VALU_DEP_1) | instskip(SKIP_1) | instid1(VALU_DEP_1)
	v_add_f64 v[8:9], v[78:79], v[8:9]
	v_mul_f64 v[78:79], v[251:252], s[30:31]
	v_fma_f64 v[76:77], v[253:254], s[18:19], v[78:79]
	v_fma_f64 v[78:79], v[253:254], s[18:19], -v[78:79]
	s_delay_alu instid0(VALU_DEP_2) | instskip(SKIP_1) | instid1(VALU_DEP_1)
	v_add_f64 v[10:11], v[76:77], v[10:11]
	v_fma_f64 v[76:77], v[211:212], s[4:5], v[85:86]
	v_add_f64 v[20:21], v[76:77], v[20:21]
	v_fma_f64 v[76:77], v[217:218], s[4:5], -v[87:88]
	v_mul_f64 v[87:88], v[203:204], s[34:35]
	s_delay_alu instid0(VALU_DEP_2) | instskip(SKIP_2) | instid1(VALU_DEP_4)
	v_add_f64 v[22:23], v[76:77], v[22:23]
	v_fma_f64 v[76:77], v[223:224], s[10:11], v[89:90]
	v_mul_f64 v[89:90], v[209:210], s[44:45]
	v_fma_f64 v[83:84], v[205:206], s[4:5], v[87:88]
	v_fma_f64 v[87:88], v[205:206], s[4:5], -v[87:88]
	s_delay_alu instid0(VALU_DEP_4)
	v_add_f64 v[20:21], v[76:77], v[20:21]
	v_fma_f64 v[76:77], v[229:230], s[10:11], -v[91:92]
	v_fma_f64 v[85:86], v[211:212], s[12:13], -v[89:90]
	v_mul_f64 v[91:92], v[215:216], s[44:45]
	v_add_f64 v[83:84], v[83:84], v[105:106]
	v_fma_f64 v[89:90], v[211:212], s[12:13], v[89:90]
	v_add_f64 v[87:88], v[87:88], v[109:110]
	v_mul_f64 v[105:106], v[245:246], s[22:23]
	v_mul_f64 v[109:110], v[239:240], s[40:41]
	v_add_f64 v[22:23], v[76:77], v[22:23]
	v_fma_f64 v[76:77], v[235:236], s[14:15], v[93:94]
	v_mul_f64 v[93:94], v[221:222], s[30:31]
	s_delay_alu instid0(VALU_DEP_2) | instskip(SKIP_2) | instid1(VALU_DEP_2)
	v_add_f64 v[20:21], v[76:77], v[20:21]
	v_fma_f64 v[76:77], v[241:242], s[14:15], -v[103:104]
	v_mul_f64 v[103:104], v[239:240], s[24:25]
	v_add_f64 v[22:23], v[76:77], v[22:23]
	v_fma_f64 v[76:77], v[247:248], s[18:19], v[131:132]
	s_delay_alu instid0(VALU_DEP_2) | instskip(NEXT) | instid1(VALU_DEP_2)
	v_add_f64 v[22:23], v[78:79], v[22:23]
	v_add_f64 v[20:21], v[76:77], v[20:21]
	v_mul_f64 v[76:77], v[197:198], s[34:35]
	s_delay_alu instid0(VALU_DEP_1) | instskip(SKIP_1) | instid1(VALU_DEP_2)
	v_fma_f64 v[78:79], v[199:200], s[4:5], -v[76:77]
	v_fma_f64 v[76:77], v[199:200], s[4:5], v[76:77]
	v_add_f64 v[78:79], v[78:79], v[97:98]
	s_delay_alu instid0(VALU_DEP_2) | instskip(SKIP_2) | instid1(VALU_DEP_4)
	v_add_f64 v[76:77], v[76:77], v[107:108]
	v_mul_f64 v[97:98], v[233:234], s[24:25]
	v_mul_f64 v[107:108], v[233:234], s[40:41]
	v_add_f64 v[78:79], v[85:86], v[78:79]
	v_fma_f64 v[85:86], v[217:218], s[12:13], v[91:92]
	v_add_f64 v[76:77], v[89:90], v[76:77]
	v_fma_f64 v[89:90], v[217:218], s[12:13], -v[91:92]
	s_delay_alu instid0(VALU_DEP_3) | instskip(SKIP_1) | instid1(VALU_DEP_3)
	v_add_f64 v[83:84], v[85:86], v[83:84]
	v_fma_f64 v[85:86], v[223:224], s[18:19], -v[93:94]
	v_add_f64 v[87:88], v[89:90], v[87:88]
	v_fma_f64 v[89:90], v[223:224], s[18:19], v[93:94]
	s_delay_alu instid0(VALU_DEP_3) | instskip(SKIP_1) | instid1(VALU_DEP_3)
	v_add_f64 v[78:79], v[85:86], v[78:79]
	v_fma_f64 v[85:86], v[229:230], s[18:19], v[95:96]
	v_add_f64 v[76:77], v[89:90], v[76:77]
	v_fma_f64 v[89:90], v[229:230], s[18:19], -v[95:96]
	v_mul_f64 v[95:96], v[203:204], s[36:37]
	s_delay_alu instid0(VALU_DEP_4) | instskip(SKIP_1) | instid1(VALU_DEP_4)
	v_add_f64 v[83:84], v[85:86], v[83:84]
	v_fma_f64 v[85:86], v[235:236], s[16:17], -v[97:98]
	v_add_f64 v[87:88], v[89:90], v[87:88]
	v_fma_f64 v[89:90], v[235:236], s[16:17], v[97:98]
	v_mul_f64 v[97:98], v[209:210], s[30:31]
	v_fma_f64 v[91:92], v[205:206], s[10:11], v[95:96]
	v_fma_f64 v[95:96], v[205:206], s[10:11], -v[95:96]
	v_add_f64 v[78:79], v[85:86], v[78:79]
	v_fma_f64 v[85:86], v[241:242], s[16:17], v[103:104]
	v_add_f64 v[76:77], v[89:90], v[76:77]
	v_fma_f64 v[89:90], v[241:242], s[16:17], -v[103:104]
	v_fma_f64 v[93:94], v[211:212], s[18:19], -v[97:98]
	v_add_f64 v[91:92], v[91:92], v[177:178]
	v_mul_f64 v[103:104], v[221:222], s[26:27]
	v_fma_f64 v[97:98], v[211:212], s[18:19], v[97:98]
	v_add_f64 v[95:96], v[95:96], v[139:140]
	v_mul_f64 v[139:140], v[233:234], s[30:31]
	v_add_f64 v[85:86], v[85:86], v[83:84]
	v_fma_f64 v[83:84], v[247:248], s[10:11], -v[105:106]
	v_add_f64 v[89:90], v[89:90], v[87:88]
	v_fma_f64 v[87:88], v[247:248], s[10:11], v[105:106]
	v_mul_f64 v[105:106], v[227:228], s[26:27]
	s_delay_alu instid0(VALU_DEP_4) | instskip(SKIP_1) | instid1(VALU_DEP_4)
	v_add_f64 v[83:84], v[83:84], v[78:79]
	v_mul_f64 v[78:79], v[251:252], s[22:23]
	v_add_f64 v[87:88], v[87:88], v[76:77]
	v_mul_f64 v[76:77], v[197:198], s[36:37]
	s_delay_alu instid0(VALU_DEP_3) | instskip(SKIP_1) | instid1(VALU_DEP_2)
	v_fma_f64 v[131:132], v[253:254], s[10:11], v[78:79]
	v_fma_f64 v[78:79], v[253:254], s[10:11], -v[78:79]
	v_add_f64 v[85:86], v[131:132], v[85:86]
	s_delay_alu instid0(VALU_DEP_2) | instskip(SKIP_3) | instid1(VALU_DEP_3)
	v_add_f64 v[89:90], v[78:79], v[89:90]
	v_fma_f64 v[78:79], v[199:200], s[10:11], -v[76:77]
	v_fma_f64 v[76:77], v[199:200], s[10:11], v[76:77]
	v_mul_f64 v[131:132], v[245:246], s[38:39]
	v_add_f64 v[78:79], v[78:79], v[99:100]
	v_mul_f64 v[99:100], v[215:216], s[30:31]
	s_delay_alu instid0(VALU_DEP_4) | instskip(SKIP_1) | instid1(VALU_DEP_4)
	v_add_f64 v[76:77], v[76:77], v[179:180]
	v_mul_f64 v[179:180], v[245:246], s[20:21]
	v_add_f64 v[78:79], v[93:94], v[78:79]
	s_delay_alu instid0(VALU_DEP_4) | instskip(NEXT) | instid1(VALU_DEP_4)
	v_fma_f64 v[93:94], v[217:218], s[18:19], v[99:100]
	v_add_f64 v[76:77], v[97:98], v[76:77]
	v_fma_f64 v[97:98], v[217:218], s[18:19], -v[99:100]
	s_delay_alu instid0(VALU_DEP_3) | instskip(SKIP_1) | instid1(VALU_DEP_3)
	v_add_f64 v[91:92], v[93:94], v[91:92]
	v_fma_f64 v[93:94], v[223:224], s[14:15], -v[103:104]
	v_add_f64 v[95:96], v[97:98], v[95:96]
	v_fma_f64 v[97:98], v[223:224], s[14:15], v[103:104]
	v_mul_f64 v[103:104], v[203:204], s[28:29]
	s_delay_alu instid0(VALU_DEP_4) | instskip(SKIP_1) | instid1(VALU_DEP_4)
	v_add_f64 v[78:79], v[93:94], v[78:79]
	v_fma_f64 v[93:94], v[229:230], s[14:15], v[105:106]
	v_add_f64 v[76:77], v[97:98], v[76:77]
	v_fma_f64 v[97:98], v[229:230], s[14:15], -v[105:106]
	v_mul_f64 v[105:106], v[209:210], s[24:25]
	v_fma_f64 v[99:100], v[205:206], s[14:15], v[103:104]
	v_fma_f64 v[103:104], v[205:206], s[14:15], -v[103:104]
	v_add_f64 v[91:92], v[93:94], v[91:92]
	v_fma_f64 v[93:94], v[235:236], s[4:5], -v[107:108]
	v_add_f64 v[95:96], v[97:98], v[95:96]
	v_fma_f64 v[97:98], v[235:236], s[4:5], v[107:108]
	v_mul_f64 v[107:108], v[215:216], s[24:25]
	v_add_f64 v[99:100], v[99:100], v[181:182]
	v_add_f64 v[103:104], v[103:104], v[141:142]
	v_mul_f64 v[141:142], v[215:216], s[22:23]
	v_mul_f64 v[215:216], v[167:168], s[30:31]
	v_add_f64 v[78:79], v[93:94], v[78:79]
	v_fma_f64 v[93:94], v[241:242], s[4:5], v[109:110]
	v_add_f64 v[76:77], v[97:98], v[76:77]
	v_fma_f64 v[97:98], v[241:242], s[4:5], -v[109:110]
	v_mul_f64 v[109:110], v[221:222], s[40:41]
	s_delay_alu instid0(VALU_DEP_4) | instskip(SKIP_1) | instid1(VALU_DEP_4)
	v_add_f64 v[93:94], v[93:94], v[91:92]
	v_fma_f64 v[91:92], v[247:248], s[16:17], -v[131:132]
	v_add_f64 v[97:98], v[97:98], v[95:96]
	v_fma_f64 v[95:96], v[247:248], s[16:17], v[131:132]
	v_mul_f64 v[131:132], v[227:228], s[40:41]
	s_delay_alu instid0(VALU_DEP_4) | instskip(SKIP_1) | instid1(VALU_DEP_4)
	v_add_f64 v[91:92], v[91:92], v[78:79]
	v_mul_f64 v[78:79], v[251:252], s[38:39]
	v_add_f64 v[95:96], v[95:96], v[76:77]
	v_mul_f64 v[76:77], v[197:198], s[28:29]
	s_delay_alu instid0(VALU_DEP_3) | instskip(SKIP_1) | instid1(VALU_DEP_2)
	v_fma_f64 v[177:178], v[253:254], s[16:17], v[78:79]
	v_fma_f64 v[78:79], v[253:254], s[16:17], -v[78:79]
	v_add_f64 v[93:94], v[177:178], v[93:94]
	s_delay_alu instid0(VALU_DEP_2) | instskip(SKIP_3) | instid1(VALU_DEP_3)
	v_add_f64 v[97:98], v[78:79], v[97:98]
	v_fma_f64 v[78:79], v[199:200], s[14:15], -v[76:77]
	v_fma_f64 v[76:77], v[199:200], s[14:15], v[76:77]
	v_mul_f64 v[177:178], v[239:240], s[30:31]
	v_add_f64 v[78:79], v[78:79], v[101:102]
	v_fma_f64 v[101:102], v[211:212], s[16:17], -v[105:106]
	s_delay_alu instid0(VALU_DEP_4) | instskip(SKIP_2) | instid1(VALU_DEP_4)
	v_add_f64 v[76:77], v[76:77], v[183:184]
	v_fma_f64 v[105:106], v[211:212], s[16:17], v[105:106]
	v_mul_f64 v[183:184], v[239:240], s[20:21]
	v_add_f64 v[78:79], v[101:102], v[78:79]
	v_fma_f64 v[101:102], v[217:218], s[16:17], v[107:108]
	s_delay_alu instid0(VALU_DEP_4) | instskip(SKIP_1) | instid1(VALU_DEP_3)
	v_add_f64 v[76:77], v[105:106], v[76:77]
	v_fma_f64 v[105:106], v[217:218], s[16:17], -v[107:108]
	v_add_f64 v[99:100], v[101:102], v[99:100]
	v_fma_f64 v[101:102], v[223:224], s[4:5], -v[109:110]
	s_delay_alu instid0(VALU_DEP_3) | instskip(SKIP_1) | instid1(VALU_DEP_3)
	v_add_f64 v[103:104], v[105:106], v[103:104]
	v_fma_f64 v[105:106], v[223:224], s[4:5], v[109:110]
	v_add_f64 v[78:79], v[101:102], v[78:79]
	v_fma_f64 v[101:102], v[229:230], s[4:5], v[131:132]
	s_delay_alu instid0(VALU_DEP_3)
	v_add_f64 v[76:77], v[105:106], v[76:77]
	v_fma_f64 v[105:106], v[229:230], s[4:5], -v[131:132]
	v_mul_f64 v[131:132], v[203:204], s[30:31]
	v_mul_f64 v[203:204], v[167:168], s[36:37]
	v_add_f64 v[99:100], v[101:102], v[99:100]
	v_fma_f64 v[101:102], v[235:236], s[18:19], -v[139:140]
	v_add_f64 v[103:104], v[105:106], v[103:104]
	v_fma_f64 v[105:106], v[235:236], s[18:19], v[139:140]
	v_mul_f64 v[139:140], v[209:210], s[22:23]
	v_fma_f64 v[107:108], v[205:206], s[18:19], v[131:132]
	v_add_f64 v[78:79], v[101:102], v[78:79]
	v_fma_f64 v[101:102], v[241:242], s[18:19], v[177:178]
	v_add_f64 v[76:77], v[105:106], v[76:77]
	v_fma_f64 v[105:106], v[241:242], s[18:19], -v[177:178]
	v_fma_f64 v[109:110], v[211:212], s[10:11], -v[139:140]
	v_add_f64 v[107:108], v[107:108], v[185:186]
	v_mul_f64 v[177:178], v[221:222], s[38:39]
	v_mul_f64 v[185:186], v[245:246], s[28:29]
	v_add_f64 v[101:102], v[101:102], v[99:100]
	v_fma_f64 v[99:100], v[247:248], s[12:13], -v[179:180]
	v_add_f64 v[105:106], v[105:106], v[103:104]
	v_fma_f64 v[103:104], v[247:248], s[12:13], v[179:180]
	v_mul_f64 v[179:180], v[227:228], s[38:39]
	s_delay_alu instid0(VALU_DEP_4) | instskip(SKIP_1) | instid1(VALU_DEP_4)
	v_add_f64 v[99:100], v[99:100], v[78:79]
	v_mul_f64 v[78:79], v[251:252], s[20:21]
	v_add_f64 v[103:104], v[103:104], v[76:77]
	v_mul_f64 v[76:77], v[197:198], s[30:31]
	s_delay_alu instid0(VALU_DEP_3) | instskip(SKIP_1) | instid1(VALU_DEP_2)
	v_fma_f64 v[181:182], v[253:254], s[12:13], v[78:79]
	v_fma_f64 v[78:79], v[253:254], s[12:13], -v[78:79]
	v_add_f64 v[101:102], v[181:182], v[101:102]
	s_delay_alu instid0(VALU_DEP_2) | instskip(SKIP_3) | instid1(VALU_DEP_3)
	v_add_f64 v[105:106], v[78:79], v[105:106]
	v_fma_f64 v[78:79], v[199:200], s[18:19], -v[76:77]
	v_mul_f64 v[181:182], v[233:234], s[20:21]
	v_fma_f64 v[76:77], v[199:200], s[18:19], v[76:77]
	v_add_f64 v[78:79], v[78:79], v[191:192]
	v_mul_f64 v[191:192], v[251:252], s[28:29]
	s_delay_alu instid0(VALU_DEP_3) | instskip(SKIP_1) | instid1(VALU_DEP_4)
	v_add_f64 v[76:77], v[76:77], v[193:194]
	v_add_f64 v[193:194], v[42:43], v[46:47]
	;; [unrolled: 1-line block ×3, first 2 shown]
	v_fma_f64 v[109:110], v[217:218], s[10:11], v[141:142]
	s_delay_alu instid0(VALU_DEP_1) | instskip(SKIP_1) | instid1(VALU_DEP_1)
	v_add_f64 v[107:108], v[109:110], v[107:108]
	v_fma_f64 v[109:110], v[223:224], s[16:17], -v[177:178]
	v_add_f64 v[78:79], v[109:110], v[78:79]
	v_fma_f64 v[109:110], v[229:230], s[16:17], v[179:180]
	s_delay_alu instid0(VALU_DEP_1) | instskip(SKIP_1) | instid1(VALU_DEP_1)
	v_add_f64 v[107:108], v[109:110], v[107:108]
	v_fma_f64 v[109:110], v[235:236], s[12:13], -v[181:182]
	v_add_f64 v[78:79], v[109:110], v[78:79]
	;; [unrolled: 5-line block ×3, first 2 shown]
	v_fma_f64 v[78:79], v[253:254], s[14:15], v[191:192]
	s_delay_alu instid0(VALU_DEP_1) | instskip(SKIP_2) | instid1(VALU_DEP_2)
	v_add_f64 v[109:110], v[78:79], v[109:110]
	v_fma_f64 v[78:79], v[205:206], s[18:19], -v[131:132]
	v_fma_f64 v[131:132], v[211:212], s[10:11], v[139:140]
	v_add_f64 v[78:79], v[78:79], v[195:196]
	s_delay_alu instid0(VALU_DEP_2) | instskip(SKIP_3) | instid1(VALU_DEP_3)
	v_add_f64 v[76:77], v[131:132], v[76:77]
	v_fma_f64 v[131:132], v[217:218], s[10:11], -v[141:142]
	v_fma_f64 v[141:142], v[253:254], s[14:15], -v[191:192]
	v_add_f64 v[191:192], v[40:41], -v[44:45]
	v_add_f64 v[78:79], v[131:132], v[78:79]
	v_fma_f64 v[131:132], v[223:224], s[16:17], v[177:178]
	v_fma_f64 v[177:178], v[217:218], s[14:15], v[219:220]
	s_delay_alu instid0(VALU_DEP_4) | instskip(SKIP_1) | instid1(VALU_DEP_4)
	v_mul_f64 v[195:196], v[191:192], s[34:35]
	v_mul_f64 v[217:218], v[173:174], s[24:25]
	v_add_f64 v[76:77], v[131:132], v[76:77]
	v_fma_f64 v[131:132], v[229:230], s[16:17], -v[179:180]
	v_add_f64 v[179:180], v[36:37], -v[48:49]
	s_delay_alu instid0(VALU_DEP_2) | instskip(SKIP_2) | instid1(VALU_DEP_4)
	v_add_f64 v[78:79], v[131:132], v[78:79]
	v_fma_f64 v[131:132], v[235:236], s[12:13], v[181:182]
	v_add_f64 v[181:182], v[38:39], v[50:51]
	v_mul_f64 v[219:220], v[179:180], s[24:25]
	s_delay_alu instid0(VALU_DEP_3) | instskip(SKIP_2) | instid1(VALU_DEP_2)
	v_add_f64 v[76:77], v[131:132], v[76:77]
	v_fma_f64 v[131:132], v[241:242], s[12:13], -v[183:184]
	v_mul_f64 v[183:184], v[179:180], s[22:23]
	v_add_f64 v[78:79], v[131:132], v[78:79]
	v_fma_f64 v[131:132], v[247:248], s[14:15], v[185:186]
	v_add_f64 v[185:186], v[42:43], -v[46:47]
	s_delay_alu instid0(VALU_DEP_3) | instskip(NEXT) | instid1(VALU_DEP_3)
	v_add_f64 v[141:142], v[141:142], v[78:79]
	v_add_f64 v[139:140], v[131:132], v[76:77]
	v_fma_f64 v[76:77], v[199:200], s[16:17], -v[201:202]
	v_fma_f64 v[78:79], v[205:206], s[16:17], v[207:208]
	v_fma_f64 v[131:132], v[211:212], s[14:15], -v[213:214]
	v_mul_f64 v[189:190], v[185:186], s[34:35]
	v_mul_f64 v[199:200], v[155:156], s[34:35]
	;; [unrolled: 1-line block ×9, first 2 shown]
	v_add_f64 v[76:77], v[76:77], v[143:144]
	v_add_f64 v[78:79], v[78:79], v[145:146]
	v_fma_f64 v[143:144], v[223:224], s[12:13], -v[225:226]
	v_fma_f64 v[145:146], v[229:230], s[12:13], v[231:232]
	v_mul_f64 v[223:224], v[191:192], s[22:23]
	v_add_f64 v[76:77], v[131:132], v[76:77]
	v_add_f64 v[78:79], v[177:178], v[78:79]
	v_fma_f64 v[131:132], v[235:236], s[10:11], -v[237:238]
	v_fma_f64 v[177:178], v[241:242], s[10:11], v[243:244]
	s_delay_alu instid0(VALU_DEP_4) | instskip(NEXT) | instid1(VALU_DEP_4)
	v_add_f64 v[76:77], v[143:144], v[76:77]
	v_add_f64 v[78:79], v[145:146], v[78:79]
	v_fma_f64 v[143:144], v[247:248], s[4:5], -v[249:250]
	s_delay_alu instid0(VALU_DEP_3) | instskip(NEXT) | instid1(VALU_DEP_3)
	v_add_f64 v[76:77], v[131:132], v[76:77]
	v_add_f64 v[78:79], v[177:178], v[78:79]
	v_mul_f64 v[177:178], v[173:174], s[22:23]
	s_delay_alu instid0(VALU_DEP_3) | instskip(NEXT) | instid1(VALU_DEP_3)
	v_add_f64 v[143:144], v[143:144], v[76:77]
	v_add_f64 v[145:146], v[137:138], v[78:79]
	ds_store_b128 v68, v[8:11] offset:64
	ds_store_b128 v68, v[83:86] offset:96
	;; [unrolled: 1-line block ×12, first 2 shown]
	ds_store_b128 v68, v[0:3]
	v_add_f64 v[0:1], v[18:19], -v[66:67]
	v_add_f64 v[20:21], v[16:17], v[64:65]
	v_add_f64 v[91:92], v[18:19], v[66:67]
	v_add_f64 v[145:146], v[24:25], -v[60:61]
	v_add_f64 v[139:140], v[26:27], -v[62:63]
	v_add_f64 v[141:142], v[24:25], v[60:61]
	v_add_f64 v[18:19], v[14:15], v[18:19]
	v_mul_f64 v[2:3], v[0:1], s[42:43]
	v_mul_f64 v[4:5], v[0:1], s[24:25]
	;; [unrolled: 1-line block ×9, first 2 shown]
	v_fma_f64 v[22:23], v[20:21], s[18:19], -v[2:3]
	v_fma_f64 v[2:3], v[20:21], s[18:19], v[2:3]
	v_fma_f64 v[68:69], v[20:21], s[16:17], -v[4:5]
	v_fma_f64 v[4:5], v[20:21], s[16:17], v[4:5]
	;; [unrolled: 2-line block ×6, first 2 shown]
	v_add_f64 v[20:21], v[16:17], -v[64:65]
	v_add_f64 v[16:17], v[12:13], v[16:17]
	v_add_f64 v[22:23], v[12:13], v[22:23]
	;; [unrolled: 1-line block ×12, first 2 shown]
	v_mul_f64 v[78:79], v[20:21], s[42:43]
	v_mul_f64 v[83:84], v[20:21], s[24:25]
	;; [unrolled: 1-line block ×6, first 2 shown]
	v_fma_f64 v[0:1], v[141:142], s[16:17], -v[143:144]
	v_fma_f64 v[93:94], v[91:92], s[18:19], v[78:79]
	v_fma_f64 v[78:79], v[91:92], s[18:19], -v[78:79]
	v_fma_f64 v[95:96], v[91:92], s[16:17], v[83:84]
	;; [unrolled: 2-line block ×6, first 2 shown]
	v_fma_f64 v[20:21], v[91:92], s[4:5], -v[20:21]
	v_add_f64 v[0:1], v[0:1], v[22:23]
	v_mul_f64 v[22:23], v[145:146], s[34:35]
	v_add_f64 v[91:92], v[14:15], v[93:94]
	v_add_f64 v[93:94], v[12:13], v[2:3]
	v_fma_f64 v[2:3], v[147:148], s[16:17], v[149:150]
	v_add_f64 v[95:96], v[14:15], v[95:96]
	v_add_f64 v[97:98], v[14:15], v[97:98]
	;; [unrolled: 1-line block ×9, first 2 shown]
	v_mul_f64 v[20:21], v[139:140], s[34:35]
	v_fma_f64 v[10:11], v[147:148], s[4:5], v[22:23]
	v_add_f64 v[89:90], v[14:15], v[89:90]
	v_add_f64 v[103:104], v[14:15], v[103:104]
	;; [unrolled: 1-line block ×3, first 2 shown]
	v_fma_f64 v[18:19], v[147:148], s[4:5], -v[22:23]
	v_fma_f64 v[22:23], v[193:194], s[10:11], -v[223:224]
	v_mul_f64 v[26:27], v[145:146], s[36:37]
	v_add_f64 v[2:3], v[2:3], v[91:92]
	v_add_f64 v[91:92], v[30:31], -v[58:59]
	v_add_f64 v[10:11], v[10:11], v[97:98]
	v_mul_f64 v[97:98], v[155:156], s[44:45]
	v_add_f64 v[14:15], v[14:15], v[30:31]
	v_add_f64 v[18:19], v[18:19], v[85:86]
	v_mul_f64 v[153:154], v[91:92], s[26:27]
	s_delay_alu instid0(VALU_DEP_3) | instskip(NEXT) | instid1(VALU_DEP_2)
	v_add_f64 v[14:15], v[14:15], v[34:35]
	v_fma_f64 v[4:5], v[151:152], s[14:15], -v[153:154]
	s_delay_alu instid0(VALU_DEP_2) | instskip(NEXT) | instid1(VALU_DEP_2)
	v_add_f64 v[14:15], v[14:15], v[38:39]
	v_add_f64 v[0:1], v[4:5], v[0:1]
	v_fma_f64 v[4:5], v[157:158], s[14:15], v[159:160]
	s_delay_alu instid0(VALU_DEP_3) | instskip(NEXT) | instid1(VALU_DEP_2)
	v_add_f64 v[14:15], v[14:15], v[42:43]
	v_add_f64 v[2:3], v[4:5], v[2:3]
	v_fma_f64 v[4:5], v[163:164], s[12:13], -v[165:166]
	s_delay_alu instid0(VALU_DEP_3) | instskip(NEXT) | instid1(VALU_DEP_2)
	v_add_f64 v[14:15], v[14:15], v[46:47]
	v_add_f64 v[0:1], v[4:5], v[0:1]
	v_fma_f64 v[4:5], v[169:170], s[12:13], v[171:172]
	s_delay_alu instid0(VALU_DEP_3) | instskip(NEXT) | instid1(VALU_DEP_2)
	v_add_f64 v[14:15], v[14:15], v[50:51]
	v_add_f64 v[2:3], v[4:5], v[2:3]
	v_fma_f64 v[4:5], v[175:176], s[10:11], -v[177:178]
	s_delay_alu instid0(VALU_DEP_3) | instskip(NEXT) | instid1(VALU_DEP_2)
	v_add_f64 v[14:15], v[14:15], v[54:55]
	v_add_f64 v[0:1], v[4:5], v[0:1]
	v_fma_f64 v[4:5], v[181:182], s[10:11], v[183:184]
	s_delay_alu instid0(VALU_DEP_3) | instskip(SKIP_1) | instid1(VALU_DEP_3)
	v_add_f64 v[14:15], v[14:15], v[58:59]
	v_mul_f64 v[58:59], v[191:192], s[28:29]
	v_add_f64 v[2:3], v[4:5], v[2:3]
	v_fma_f64 v[4:5], v[187:188], s[4:5], -v[189:190]
	s_delay_alu instid0(VALU_DEP_4) | instskip(NEXT) | instid1(VALU_DEP_2)
	v_add_f64 v[14:15], v[14:15], v[62:63]
	v_add_f64 v[0:1], v[4:5], v[0:1]
	v_fma_f64 v[4:5], v[193:194], s[4:5], v[195:196]
	s_delay_alu instid0(VALU_DEP_3) | instskip(NEXT) | instid1(VALU_DEP_2)
	v_add_f64 v[14:15], v[14:15], v[66:67]
	v_add_f64 v[2:3], v[4:5], v[2:3]
	v_fma_f64 v[4:5], v[141:142], s[12:13], -v[197:198]
	s_delay_alu instid0(VALU_DEP_1) | instskip(SKIP_1) | instid1(VALU_DEP_1)
	v_add_f64 v[4:5], v[4:5], v[68:69]
	v_mul_f64 v[68:69], v[145:146], s[20:21]
	v_fma_f64 v[6:7], v[147:148], s[12:13], v[68:69]
	s_delay_alu instid0(VALU_DEP_1) | instskip(SKIP_1) | instid1(VALU_DEP_1)
	v_add_f64 v[6:7], v[6:7], v[95:96]
	v_mul_f64 v[95:96], v[91:92], s[34:35]
	v_fma_f64 v[8:9], v[151:152], s[4:5], -v[95:96]
	s_delay_alu instid0(VALU_DEP_1) | instskip(SKIP_1) | instid1(VALU_DEP_1)
	v_add_f64 v[4:5], v[8:9], v[4:5]
	v_fma_f64 v[8:9], v[157:158], s[4:5], v[199:200]
	v_add_f64 v[6:7], v[8:9], v[6:7]
	v_fma_f64 v[8:9], v[163:164], s[10:11], -v[201:202]
	s_delay_alu instid0(VALU_DEP_1) | instskip(SKIP_1) | instid1(VALU_DEP_1)
	v_add_f64 v[4:5], v[8:9], v[4:5]
	v_fma_f64 v[8:9], v[169:170], s[10:11], v[203:204]
	v_add_f64 v[6:7], v[8:9], v[6:7]
	;; [unrolled: 5-line block ×4, first 2 shown]
	v_fma_f64 v[8:9], v[141:142], s[4:5], -v[20:21]
	s_delay_alu instid0(VALU_DEP_1) | instskip(SKIP_1) | instid1(VALU_DEP_1)
	v_add_f64 v[8:9], v[8:9], v[70:71]
	v_mul_f64 v[70:71], v[91:92], s[44:45]
	v_fma_f64 v[12:13], v[151:152], s[12:13], -v[70:71]
	s_delay_alu instid0(VALU_DEP_1) | instskip(SKIP_1) | instid1(VALU_DEP_1)
	v_add_f64 v[8:9], v[12:13], v[8:9]
	v_fma_f64 v[12:13], v[157:158], s[12:13], v[97:98]
	v_add_f64 v[10:11], v[12:13], v[10:11]
	v_fma_f64 v[12:13], v[163:164], s[18:19], -v[213:214]
	s_delay_alu instid0(VALU_DEP_1) | instskip(SKIP_1) | instid1(VALU_DEP_1)
	v_add_f64 v[8:9], v[12:13], v[8:9]
	v_fma_f64 v[12:13], v[169:170], s[18:19], v[215:216]
	v_add_f64 v[10:11], v[12:13], v[10:11]
	;; [unrolled: 5-line block ×4, first 2 shown]
	v_add_f64 v[12:13], v[16:17], v[24:25]
	v_fma_f64 v[16:17], v[141:142], s[4:5], v[20:21]
	v_fma_f64 v[20:21], v[151:152], s[12:13], v[70:71]
	v_mul_f64 v[24:25], v[139:140], s[36:37]
	s_delay_alu instid0(VALU_DEP_4) | instskip(NEXT) | instid1(VALU_DEP_4)
	v_add_f64 v[12:13], v[12:13], v[28:29]
	v_add_f64 v[16:17], v[16:17], v[107:108]
	v_mul_f64 v[28:29], v[91:92], s[30:31]
	s_delay_alu instid0(VALU_DEP_3) | instskip(NEXT) | instid1(VALU_DEP_3)
	v_add_f64 v[12:13], v[12:13], v[32:33]
	v_add_f64 v[16:17], v[20:21], v[16:17]
	v_fma_f64 v[20:21], v[157:158], s[12:13], -v[97:98]
	s_delay_alu instid0(VALU_DEP_4) | instskip(SKIP_2) | instid1(VALU_DEP_4)
	v_fma_f64 v[30:31], v[151:152], s[18:19], -v[28:29]
	v_fma_f64 v[28:29], v[151:152], s[18:19], v[28:29]
	v_add_f64 v[12:13], v[12:13], v[36:37]
	v_add_f64 v[18:19], v[20:21], v[18:19]
	v_fma_f64 v[20:21], v[163:164], s[18:19], v[213:214]
	s_delay_alu instid0(VALU_DEP_3) | instskip(NEXT) | instid1(VALU_DEP_2)
	v_add_f64 v[12:13], v[12:13], v[40:41]
	v_add_f64 v[16:17], v[20:21], v[16:17]
	v_fma_f64 v[20:21], v[169:170], s[18:19], -v[215:216]
	s_delay_alu instid0(VALU_DEP_3) | instskip(NEXT) | instid1(VALU_DEP_2)
	v_add_f64 v[12:13], v[12:13], v[44:45]
	v_add_f64 v[18:19], v[20:21], v[18:19]
	v_fma_f64 v[20:21], v[175:176], s[16:17], v[217:218]
	s_delay_alu instid0(VALU_DEP_3) | instskip(NEXT) | instid1(VALU_DEP_2)
	v_add_f64 v[12:13], v[12:13], v[48:49]
	v_add_f64 v[16:17], v[20:21], v[16:17]
	v_fma_f64 v[20:21], v[181:182], s[16:17], -v[219:220]
	s_delay_alu instid0(VALU_DEP_3) | instskip(NEXT) | instid1(VALU_DEP_2)
	v_add_f64 v[12:13], v[12:13], v[52:53]
	v_add_f64 v[18:19], v[20:21], v[18:19]
	v_fma_f64 v[20:21], v[187:188], s[10:11], v[221:222]
	s_delay_alu instid0(VALU_DEP_3) | instskip(NEXT) | instid1(VALU_DEP_3)
	v_add_f64 v[12:13], v[12:13], v[56:57]
	v_add_f64 v[18:19], v[22:23], v[18:19]
	s_delay_alu instid0(VALU_DEP_3)
	v_add_f64 v[16:17], v[20:21], v[16:17]
	v_fma_f64 v[20:21], v[141:142], s[10:11], -v[24:25]
	v_fma_f64 v[22:23], v[147:148], s[10:11], v[26:27]
	v_fma_f64 v[24:25], v[141:142], s[10:11], v[24:25]
	v_fma_f64 v[26:27], v[147:148], s[10:11], -v[26:27]
	v_add_f64 v[12:13], v[12:13], v[60:61]
	v_add_f64 v[20:21], v[20:21], v[72:73]
	;; [unrolled: 1-line block ×7, first 2 shown]
	v_mul_f64 v[30:31], v[155:156], s[30:31]
	v_add_f64 v[24:25], v[28:29], v[24:25]
	s_delay_alu instid0(VALU_DEP_2) | instskip(SKIP_1) | instid1(VALU_DEP_2)
	v_fma_f64 v[32:33], v[157:158], s[18:19], v[30:31]
	v_fma_f64 v[28:29], v[157:158], s[18:19], -v[30:31]
	v_add_f64 v[22:23], v[32:33], v[22:23]
	v_mul_f64 v[32:33], v[161:162], s[26:27]
	s_delay_alu instid0(VALU_DEP_3) | instskip(NEXT) | instid1(VALU_DEP_2)
	v_add_f64 v[26:27], v[28:29], v[26:27]
	v_fma_f64 v[34:35], v[163:164], s[14:15], -v[32:33]
	v_fma_f64 v[28:29], v[163:164], s[14:15], v[32:33]
	v_mul_f64 v[32:33], v[139:140], s[28:29]
	s_delay_alu instid0(VALU_DEP_3) | instskip(SKIP_1) | instid1(VALU_DEP_4)
	v_add_f64 v[20:21], v[34:35], v[20:21]
	v_mul_f64 v[34:35], v[167:168], s[26:27]
	v_add_f64 v[24:25], v[28:29], v[24:25]
	s_delay_alu instid0(VALU_DEP_2) | instskip(SKIP_2) | instid1(VALU_DEP_3)
	v_fma_f64 v[36:37], v[169:170], s[14:15], v[34:35]
	v_fma_f64 v[28:29], v[169:170], s[14:15], -v[34:35]
	v_mul_f64 v[34:35], v[145:146], s[28:29]
	v_add_f64 v[22:23], v[36:37], v[22:23]
	v_mul_f64 v[36:37], v[173:174], s[40:41]
	s_delay_alu instid0(VALU_DEP_4) | instskip(NEXT) | instid1(VALU_DEP_2)
	v_add_f64 v[26:27], v[28:29], v[26:27]
	v_fma_f64 v[38:39], v[175:176], s[4:5], -v[36:37]
	v_fma_f64 v[28:29], v[175:176], s[4:5], v[36:37]
	v_mul_f64 v[36:37], v[91:92], s[24:25]
	s_delay_alu instid0(VALU_DEP_3) | instskip(SKIP_1) | instid1(VALU_DEP_4)
	v_add_f64 v[20:21], v[38:39], v[20:21]
	v_mul_f64 v[38:39], v[179:180], s[40:41]
	v_add_f64 v[24:25], v[28:29], v[24:25]
	s_delay_alu instid0(VALU_DEP_2) | instskip(SKIP_3) | instid1(VALU_DEP_4)
	v_fma_f64 v[40:41], v[181:182], s[4:5], v[38:39]
	v_fma_f64 v[28:29], v[181:182], s[4:5], -v[38:39]
	v_fma_f64 v[38:39], v[151:152], s[16:17], -v[36:37]
	v_fma_f64 v[36:37], v[151:152], s[16:17], v[36:37]
	v_add_f64 v[22:23], v[40:41], v[22:23]
	v_mul_f64 v[40:41], v[185:186], s[38:39]
	v_add_f64 v[26:27], v[28:29], v[26:27]
	s_delay_alu instid0(VALU_DEP_2) | instskip(SKIP_1) | instid1(VALU_DEP_2)
	v_fma_f64 v[42:43], v[187:188], s[16:17], -v[40:41]
	v_fma_f64 v[28:29], v[187:188], s[16:17], v[40:41]
	v_add_f64 v[20:21], v[42:43], v[20:21]
	v_mul_f64 v[42:43], v[191:192], s[38:39]
	s_delay_alu instid0(VALU_DEP_3) | instskip(SKIP_2) | instid1(VALU_DEP_4)
	v_add_f64 v[24:25], v[28:29], v[24:25]
	v_fma_f64 v[28:29], v[141:142], s[14:15], -v[32:33]
	v_fma_f64 v[32:33], v[141:142], s[14:15], v[32:33]
	v_fma_f64 v[30:31], v[193:194], s[16:17], -v[42:43]
	v_fma_f64 v[44:45], v[193:194], s[16:17], v[42:43]
	s_delay_alu instid0(VALU_DEP_4) | instskip(NEXT) | instid1(VALU_DEP_4)
	v_add_f64 v[28:29], v[28:29], v[74:75]
	v_add_f64 v[32:33], v[32:33], v[128:129]
	v_mov_b32_e32 v129, 0
	v_add_f64 v[26:27], v[30:31], v[26:27]
	v_fma_f64 v[30:31], v[147:148], s[14:15], v[34:35]
	v_add_f64 v[28:29], v[38:39], v[28:29]
	v_mul_f64 v[38:39], v[155:156], s[24:25]
	v_add_f64 v[22:23], v[44:45], v[22:23]
	v_fma_f64 v[34:35], v[147:148], s[14:15], -v[34:35]
	v_add_f64 v[32:33], v[36:37], v[32:33]
	v_add_f64 v[30:31], v[30:31], v[101:102]
	v_fma_f64 v[40:41], v[157:158], s[16:17], v[38:39]
	v_fma_f64 v[36:37], v[157:158], s[16:17], -v[38:39]
	v_add_f64 v[34:35], v[34:35], v[89:90]
	s_delay_alu instid0(VALU_DEP_3) | instskip(SKIP_1) | instid1(VALU_DEP_3)
	v_add_f64 v[30:31], v[40:41], v[30:31]
	v_mul_f64 v[40:41], v[161:162], s[40:41]
	v_add_f64 v[34:35], v[36:37], v[34:35]
	s_delay_alu instid0(VALU_DEP_2) | instskip(SKIP_2) | instid1(VALU_DEP_3)
	v_fma_f64 v[42:43], v[163:164], s[4:5], -v[40:41]
	v_fma_f64 v[36:37], v[163:164], s[4:5], v[40:41]
	v_mul_f64 v[40:41], v[139:140], s[30:31]
	v_add_f64 v[28:29], v[42:43], v[28:29]
	v_mul_f64 v[42:43], v[167:168], s[40:41]
	s_delay_alu instid0(VALU_DEP_4) | instskip(NEXT) | instid1(VALU_DEP_2)
	v_add_f64 v[32:33], v[36:37], v[32:33]
	v_fma_f64 v[44:45], v[169:170], s[4:5], v[42:43]
	v_fma_f64 v[36:37], v[169:170], s[4:5], -v[42:43]
	v_mul_f64 v[42:43], v[145:146], s[30:31]
	s_delay_alu instid0(VALU_DEP_3) | instskip(SKIP_1) | instid1(VALU_DEP_4)
	v_add_f64 v[30:31], v[44:45], v[30:31]
	v_mul_f64 v[44:45], v[173:174], s[30:31]
	v_add_f64 v[34:35], v[36:37], v[34:35]
	s_delay_alu instid0(VALU_DEP_2) | instskip(SKIP_2) | instid1(VALU_DEP_3)
	v_fma_f64 v[46:47], v[175:176], s[18:19], -v[44:45]
	v_fma_f64 v[36:37], v[175:176], s[18:19], v[44:45]
	v_mul_f64 v[44:45], v[91:92], s[22:23]
	v_add_f64 v[28:29], v[46:47], v[28:29]
	v_mul_f64 v[46:47], v[179:180], s[30:31]
	s_delay_alu instid0(VALU_DEP_4) | instskip(NEXT) | instid1(VALU_DEP_2)
	v_add_f64 v[32:33], v[36:37], v[32:33]
	v_fma_f64 v[48:49], v[181:182], s[18:19], v[46:47]
	v_fma_f64 v[36:37], v[181:182], s[18:19], -v[46:47]
	v_fma_f64 v[46:47], v[151:152], s[10:11], -v[44:45]
	v_fma_f64 v[44:45], v[151:152], s[10:11], v[44:45]
	s_delay_alu instid0(VALU_DEP_4) | instskip(SKIP_2) | instid1(VALU_DEP_2)
	v_add_f64 v[30:31], v[48:49], v[30:31]
	v_mul_f64 v[48:49], v[185:186], s[20:21]
	v_add_f64 v[34:35], v[36:37], v[34:35]
	v_fma_f64 v[50:51], v[187:188], s[12:13], -v[48:49]
	v_fma_f64 v[36:37], v[187:188], s[12:13], v[48:49]
	s_delay_alu instid0(VALU_DEP_2) | instskip(SKIP_1) | instid1(VALU_DEP_3)
	v_add_f64 v[28:29], v[50:51], v[28:29]
	v_mul_f64 v[50:51], v[191:192], s[20:21]
	v_add_f64 v[32:33], v[36:37], v[32:33]
	v_fma_f64 v[36:37], v[141:142], s[18:19], -v[40:41]
	v_fma_f64 v[40:41], v[141:142], s[18:19], v[40:41]
	s_delay_alu instid0(VALU_DEP_4) | instskip(SKIP_1) | instid1(VALU_DEP_4)
	v_fma_f64 v[38:39], v[193:194], s[12:13], -v[50:51]
	v_fma_f64 v[52:53], v[193:194], s[12:13], v[50:51]
	v_add_f64 v[36:37], v[36:37], v[76:77]
	s_delay_alu instid0(VALU_DEP_4) | instskip(NEXT) | instid1(VALU_DEP_4)
	v_add_f64 v[40:41], v[40:41], v[131:132]
	v_add_f64 v[34:35], v[38:39], v[34:35]
	v_fma_f64 v[38:39], v[147:148], s[18:19], v[42:43]
	s_delay_alu instid0(VALU_DEP_4)
	v_add_f64 v[36:37], v[46:47], v[36:37]
	v_mul_f64 v[46:47], v[155:156], s[22:23]
	v_add_f64 v[30:31], v[52:53], v[30:31]
	v_fma_f64 v[42:43], v[147:148], s[18:19], -v[42:43]
	v_add_f64 v[40:41], v[44:45], v[40:41]
	v_add_f64 v[38:39], v[38:39], v[103:104]
	v_fma_f64 v[48:49], v[157:158], s[10:11], v[46:47]
	v_fma_f64 v[44:45], v[157:158], s[10:11], -v[46:47]
	v_add_f64 v[42:43], v[42:43], v[137:138]
	v_fma_f64 v[46:47], v[193:194], s[14:15], -v[58:59]
	s_delay_alu instid0(VALU_DEP_4) | instskip(SKIP_1) | instid1(VALU_DEP_4)
	v_add_f64 v[38:39], v[48:49], v[38:39]
	v_mul_f64 v[48:49], v[161:162], s[38:39]
	v_add_f64 v[42:43], v[44:45], v[42:43]
	s_delay_alu instid0(VALU_DEP_2) | instskip(SKIP_2) | instid1(VALU_DEP_3)
	v_fma_f64 v[50:51], v[163:164], s[16:17], -v[48:49]
	v_fma_f64 v[44:45], v[163:164], s[16:17], v[48:49]
	v_fma_f64 v[48:49], v[151:152], s[4:5], v[95:96]
	v_add_f64 v[36:37], v[50:51], v[36:37]
	v_mul_f64 v[50:51], v[167:168], s[38:39]
	s_delay_alu instid0(VALU_DEP_4) | instskip(NEXT) | instid1(VALU_DEP_2)
	v_add_f64 v[40:41], v[44:45], v[40:41]
	v_fma_f64 v[52:53], v[169:170], s[16:17], v[50:51]
	v_fma_f64 v[44:45], v[169:170], s[16:17], -v[50:51]
	v_fma_f64 v[50:51], v[193:194], s[18:19], -v[211:212]
	s_delay_alu instid0(VALU_DEP_3) | instskip(SKIP_1) | instid1(VALU_DEP_4)
	v_add_f64 v[38:39], v[52:53], v[38:39]
	v_mul_f64 v[52:53], v[173:174], s[20:21]
	v_add_f64 v[42:43], v[44:45], v[42:43]
	s_delay_alu instid0(VALU_DEP_2) | instskip(SKIP_2) | instid1(VALU_DEP_3)
	v_fma_f64 v[54:55], v[175:176], s[12:13], -v[52:53]
	v_fma_f64 v[44:45], v[175:176], s[12:13], v[52:53]
	v_fma_f64 v[52:53], v[151:152], s[14:15], v[153:154]
	v_add_f64 v[36:37], v[54:55], v[36:37]
	v_mul_f64 v[54:55], v[179:180], s[20:21]
	s_delay_alu instid0(VALU_DEP_4) | instskip(NEXT) | instid1(VALU_DEP_2)
	v_add_f64 v[40:41], v[44:45], v[40:41]
	v_fma_f64 v[56:57], v[181:182], s[12:13], v[54:55]
	v_fma_f64 v[44:45], v[181:182], s[12:13], -v[54:55]
	v_fma_f64 v[54:55], v[157:158], s[14:15], -v[159:160]
	s_delay_alu instid0(VALU_DEP_3) | instskip(SKIP_1) | instid1(VALU_DEP_4)
	v_add_f64 v[38:39], v[56:57], v[38:39]
	v_mul_f64 v[56:57], v[185:186], s[28:29]
	v_add_f64 v[42:43], v[44:45], v[42:43]
	s_delay_alu instid0(VALU_DEP_2) | instskip(NEXT) | instid1(VALU_DEP_2)
	v_fma_f64 v[44:45], v[187:188], s[14:15], v[56:57]
	v_add_f64 v[42:43], v[46:47], v[42:43]
	v_fma_f64 v[46:47], v[147:148], s[12:13], -v[68:69]
	v_fma_f64 v[60:61], v[187:188], s[14:15], -v[56:57]
	s_delay_alu instid0(VALU_DEP_4) | instskip(SKIP_1) | instid1(VALU_DEP_4)
	v_add_f64 v[40:41], v[44:45], v[40:41]
	v_fma_f64 v[44:45], v[141:142], s[12:13], v[197:198]
	v_add_f64 v[46:47], v[46:47], v[83:84]
	s_delay_alu instid0(VALU_DEP_4) | instskip(SKIP_1) | instid1(VALU_DEP_4)
	v_add_f64 v[36:37], v[60:61], v[36:37]
	v_fma_f64 v[60:61], v[193:194], s[14:15], v[58:59]
	v_add_f64 v[44:45], v[44:45], v[105:106]
	s_delay_alu instid0(VALU_DEP_2) | instskip(NEXT) | instid1(VALU_DEP_2)
	v_add_f64 v[38:39], v[60:61], v[38:39]
	v_add_f64 v[44:45], v[48:49], v[44:45]
	v_fma_f64 v[48:49], v[157:158], s[4:5], -v[199:200]
	s_delay_alu instid0(VALU_DEP_1) | instskip(SKIP_1) | instid1(VALU_DEP_1)
	v_add_f64 v[46:47], v[48:49], v[46:47]
	v_fma_f64 v[48:49], v[163:164], s[10:11], v[201:202]
	v_add_f64 v[44:45], v[48:49], v[44:45]
	v_fma_f64 v[48:49], v[169:170], s[10:11], -v[203:204]
	s_delay_alu instid0(VALU_DEP_1) | instskip(SKIP_1) | instid1(VALU_DEP_1)
	v_add_f64 v[46:47], v[48:49], v[46:47]
	v_fma_f64 v[48:49], v[175:176], s[14:15], v[205:206]
	v_add_f64 v[44:45], v[48:49], v[44:45]
	v_fma_f64 v[48:49], v[181:182], s[14:15], -v[207:208]
	s_delay_alu instid0(VALU_DEP_1) | instskip(SKIP_1) | instid1(VALU_DEP_2)
	v_add_f64 v[46:47], v[48:49], v[46:47]
	v_fma_f64 v[48:49], v[187:188], s[18:19], v[209:210]
	v_add_f64 v[46:47], v[50:51], v[46:47]
	s_delay_alu instid0(VALU_DEP_2) | instskip(SKIP_2) | instid1(VALU_DEP_2)
	v_add_f64 v[44:45], v[48:49], v[44:45]
	v_fma_f64 v[48:49], v[141:142], s[16:17], v[143:144]
	v_fma_f64 v[50:51], v[147:148], s[16:17], -v[149:150]
	v_add_f64 v[48:49], v[48:49], v[93:94]
	s_delay_alu instid0(VALU_DEP_2) | instskip(NEXT) | instid1(VALU_DEP_2)
	v_add_f64 v[50:51], v[50:51], v[78:79]
	v_add_f64 v[48:49], v[52:53], v[48:49]
	s_delay_alu instid0(VALU_DEP_2) | instskip(SKIP_2) | instid1(VALU_DEP_2)
	v_add_f64 v[50:51], v[54:55], v[50:51]
	v_fma_f64 v[52:53], v[163:164], s[12:13], v[165:166]
	v_fma_f64 v[54:55], v[169:170], s[12:13], -v[171:172]
	v_add_f64 v[48:49], v[52:53], v[48:49]
	s_delay_alu instid0(VALU_DEP_2) | instskip(SKIP_2) | instid1(VALU_DEP_2)
	v_add_f64 v[50:51], v[54:55], v[50:51]
	v_fma_f64 v[52:53], v[175:176], s[10:11], v[177:178]
	v_fma_f64 v[54:55], v[181:182], s[10:11], -v[183:184]
	;; [unrolled: 5-line block ×3, first 2 shown]
	v_add_f64 v[48:49], v[52:53], v[48:49]
	s_delay_alu instid0(VALU_DEP_2) | instskip(SKIP_1) | instid1(VALU_DEP_1)
	v_add_f64 v[50:51], v[54:55], v[50:51]
	v_lshrrev_b32_e32 v52, 1, v116
	v_mul_lo_u32 v52, v52, 26
	s_delay_alu instid0(VALU_DEP_1) | instskip(SKIP_1) | instid1(VALU_DEP_2)
	v_or_b32_e32 v52, v52, v82
	v_cndmask_b32_e64 v82, v113, v112, s0
	v_lshl_add_u32 v52, v52, 4, 0
	s_delay_alu instid0(VALU_DEP_2)
	v_mul_i32_i24_e32 v128, 12, v82
	ds_store_b128 v52, v[12:15]
	ds_store_b128 v52, v[0:3] offset:32
	ds_store_b128 v52, v[4:7] offset:64
	;; [unrolled: 1-line block ×11, first 2 shown]
	v_lshlrev_b64 v[0:1], 4, v[128:129]
	s_delay_alu instid0(VALU_DEP_1) | instskip(NEXT) | instid1(VALU_DEP_1)
	v_add_co_u32 v16, s1, s8, v0
	v_add_co_ci_u32_e64 v17, s1, s9, v1, s1
	v_cmp_lt_u32_e64 s1, 25, v112
	ds_store_b128 v52, v[48:51] offset:384
	s_waitcnt lgkmcnt(0)
	s_barrier
	buffer_gl0_inv
	s_clause 0x1
	global_load_b128 v[8:11], v[16:17], off offset:384
	global_load_b128 v[0:3], v[16:17], off offset:400
	ds_load_b128 v[12:15], v134
	ds_load_b128 v[4:7], v130 offset:20800
	s_waitcnt vmcnt(1) lgkmcnt(1)
	v_mul_f64 v[18:19], v[14:15], v[10:11]
	v_mul_f64 v[10:11], v[12:13], v[10:11]
	s_delay_alu instid0(VALU_DEP_2) | instskip(NEXT) | instid1(VALU_DEP_2)
	v_fma_f64 v[18:19], v[12:13], v[8:9], -v[18:19]
	v_fma_f64 v[20:21], v[14:15], v[8:9], v[10:11]
	ds_load_b128 v[8:11], v135
	ds_load_b128 v[12:15], v136
	s_waitcnt vmcnt(0) lgkmcnt(1)
	v_mul_f64 v[22:23], v[10:11], v[2:3]
	v_mul_f64 v[2:3], v[8:9], v[2:3]
	s_delay_alu instid0(VALU_DEP_2) | instskip(NEXT) | instid1(VALU_DEP_2)
	v_fma_f64 v[56:57], v[8:9], v[0:1], -v[22:23]
	v_fma_f64 v[58:59], v[10:11], v[0:1], v[2:3]
	ds_load_b128 v[0:3], v255
	ds_load_b128 v[8:11], v133
	s_clause 0x1
	global_load_b128 v[22:25], v[16:17], off offset:416
	global_load_b128 v[26:29], v[16:17], off offset:432
	s_waitcnt vmcnt(1) lgkmcnt(1)
	v_mul_f64 v[30:31], v[2:3], v[24:25]
	s_delay_alu instid0(VALU_DEP_1) | instskip(SKIP_1) | instid1(VALU_DEP_1)
	v_fma_f64 v[60:61], v[0:1], v[22:23], -v[30:31]
	v_mul_f64 v[0:1], v[0:1], v[24:25]
	v_fma_f64 v[62:63], v[2:3], v[22:23], v[0:1]
	s_waitcnt vmcnt(0) lgkmcnt(0)
	v_mul_f64 v[0:1], v[10:11], v[28:29]
	s_delay_alu instid0(VALU_DEP_1) | instskip(SKIP_1) | instid1(VALU_DEP_1)
	v_fma_f64 v[64:65], v[8:9], v[26:27], -v[0:1]
	v_mul_f64 v[0:1], v[8:9], v[28:29]
	v_fma_f64 v[66:67], v[10:11], v[26:27], v[0:1]
	ds_load_b128 v[0:3], v80
	ds_load_b128 v[8:11], v81
	s_clause 0x1
	global_load_b128 v[22:25], v[16:17], off offset:448
	global_load_b128 v[26:29], v[16:17], off offset:464
	s_waitcnt vmcnt(1) lgkmcnt(1)
	v_mul_f64 v[30:31], v[2:3], v[24:25]
	s_delay_alu instid0(VALU_DEP_1) | instskip(SKIP_1) | instid1(VALU_DEP_1)
	v_fma_f64 v[68:69], v[0:1], v[22:23], -v[30:31]
	v_mul_f64 v[0:1], v[0:1], v[24:25]
	v_fma_f64 v[70:71], v[2:3], v[22:23], v[0:1]
	s_waitcnt vmcnt(0) lgkmcnt(0)
	v_mul_f64 v[0:1], v[10:11], v[28:29]
	s_delay_alu instid0(VALU_DEP_1) | instskip(SKIP_1) | instid1(VALU_DEP_1)
	v_fma_f64 v[72:73], v[8:9], v[26:27], -v[0:1]
	v_mul_f64 v[0:1], v[8:9], v[28:29]
	v_fma_f64 v[76:77], v[10:11], v[26:27], v[0:1]
	s_clause 0x1
	global_load_b128 v[0:3], v[16:17], off offset:480
	global_load_b128 v[8:11], v[16:17], off offset:496
	ds_load_b128 v[22:25], v130 offset:11648
	ds_load_b128 v[38:41], v130 offset:10816
	s_waitcnt vmcnt(1) lgkmcnt(1)
	v_mul_f64 v[26:27], v[24:25], v[2:3]
	v_mul_f64 v[2:3], v[22:23], v[2:3]
	s_delay_alu instid0(VALU_DEP_2) | instskip(NEXT) | instid1(VALU_DEP_2)
	v_fma_f64 v[78:79], v[22:23], v[0:1], -v[26:27]
	v_fma_f64 v[131:132], v[24:25], v[0:1], v[2:3]
	ds_load_b128 v[0:3], v130 offset:13312
	ds_load_b128 v[42:45], v130 offset:12480
	s_waitcnt vmcnt(0) lgkmcnt(1)
	v_mul_f64 v[22:23], v[2:3], v[10:11]
	v_add_f64 v[241:242], v[72:73], v[78:79]
	v_add_f64 v[239:240], v[76:77], -v[131:132]
	v_add_f64 v[245:246], v[72:73], -v[78:79]
	v_add_f64 v[247:248], v[76:77], v[131:132]
	v_fma_f64 v[137:138], v[0:1], v[8:9], -v[22:23]
	v_mul_f64 v[0:1], v[0:1], v[10:11]
	v_mul_f64 v[243:244], v[239:240], s[34:35]
	;; [unrolled: 1-line block ×3, first 2 shown]
	s_delay_alu instid0(VALU_DEP_4) | instskip(NEXT) | instid1(VALU_DEP_4)
	v_add_f64 v[229:230], v[68:69], v[137:138]
	v_fma_f64 v[151:152], v[2:3], v[8:9], v[0:1]
	s_clause 0x1
	global_load_b128 v[0:3], v[16:17], off offset:512
	global_load_b128 v[8:11], v[16:17], off offset:528
	ds_load_b128 v[22:25], v130 offset:14976
	ds_load_b128 v[46:49], v130 offset:14144
	v_add_f64 v[233:234], v[68:69], -v[137:138]
	v_add_f64 v[227:228], v[70:71], -v[151:152]
	v_add_f64 v[235:236], v[70:71], v[151:152]
	s_delay_alu instid0(VALU_DEP_3) | instskip(NEXT) | instid1(VALU_DEP_3)
	v_mul_f64 v[237:238], v[233:234], s[22:23]
	v_mul_f64 v[231:232], v[227:228], s[22:23]
	s_waitcnt vmcnt(1) lgkmcnt(1)
	v_mul_f64 v[26:27], v[24:25], v[2:3]
	v_mul_f64 v[2:3], v[22:23], v[2:3]
	s_delay_alu instid0(VALU_DEP_2) | instskip(NEXT) | instid1(VALU_DEP_2)
	v_fma_f64 v[153:154], v[22:23], v[0:1], -v[26:27]
	v_fma_f64 v[155:156], v[24:25], v[0:1], v[2:3]
	ds_load_b128 v[0:3], v130 offset:16640
	ds_load_b128 v[83:86], v130 offset:15808
	s_waitcnt vmcnt(0) lgkmcnt(1)
	v_mul_f64 v[22:23], v[2:3], v[10:11]
	v_add_f64 v[217:218], v[64:65], v[153:154]
	v_add_f64 v[215:216], v[66:67], -v[155:156]
	v_add_f64 v[221:222], v[64:65], -v[153:154]
	v_add_f64 v[223:224], v[66:67], v[155:156]
	v_fma_f64 v[157:158], v[0:1], v[8:9], -v[22:23]
	v_mul_f64 v[0:1], v[0:1], v[10:11]
	v_mul_f64 v[219:220], v[215:216], s[20:21]
	v_mul_f64 v[225:226], v[221:222], s[20:21]
	s_delay_alu instid0(VALU_DEP_4) | instskip(NEXT) | instid1(VALU_DEP_4)
	v_add_f64 v[205:206], v[60:61], v[157:158]
	v_fma_f64 v[159:160], v[2:3], v[8:9], v[0:1]
	s_clause 0x1
	global_load_b128 v[0:3], v[16:17], off offset:544
	global_load_b128 v[8:11], v[16:17], off offset:560
	ds_load_b128 v[22:25], v130 offset:18304
	ds_load_b128 v[87:90], v130 offset:17472
	v_add_f64 v[209:210], v[60:61], -v[157:158]
	v_add_f64 v[203:204], v[62:63], -v[159:160]
	v_add_f64 v[211:212], v[62:63], v[159:160]
	s_delay_alu instid0(VALU_DEP_3) | instskip(NEXT) | instid1(VALU_DEP_3)
	v_mul_f64 v[213:214], v[209:210], s[26:27]
	v_mul_f64 v[207:208], v[203:204], s[26:27]
	s_waitcnt vmcnt(1) lgkmcnt(1)
	v_mul_f64 v[16:17], v[24:25], v[2:3]
	v_mul_f64 v[2:3], v[22:23], v[2:3]
	s_delay_alu instid0(VALU_DEP_2) | instskip(NEXT) | instid1(VALU_DEP_2)
	v_fma_f64 v[161:162], v[22:23], v[0:1], -v[16:17]
	v_fma_f64 v[163:164], v[24:25], v[0:1], v[2:3]
	ds_load_b128 v[0:3], v130 offset:19968
	ds_load_b128 v[91:94], v130 offset:19136
	s_waitcnt vmcnt(0) lgkmcnt(1)
	v_mul_f64 v[16:17], v[2:3], v[10:11]
	v_add_f64 v[193:194], v[56:57], v[161:162]
	v_add_f64 v[191:192], v[58:59], -v[163:164]
	v_add_f64 v[197:198], v[56:57], -v[161:162]
	v_add_f64 v[199:200], v[58:59], v[163:164]
	v_fma_f64 v[165:166], v[0:1], v[8:9], -v[16:17]
	v_mul_f64 v[0:1], v[0:1], v[10:11]
	v_mul_f64 v[195:196], v[191:192], s[24:25]
	;; [unrolled: 1-line block ×3, first 2 shown]
	s_delay_alu instid0(VALU_DEP_3) | instskip(SKIP_1) | instid1(VALU_DEP_1)
	v_fma_f64 v[167:168], v[2:3], v[8:9], v[0:1]
	v_and_b32_e32 v0, 0xff, v116
	v_mul_lo_u16 v0, 0x4f, v0
	s_delay_alu instid0(VALU_DEP_1) | instskip(NEXT) | instid1(VALU_DEP_1)
	v_lshrrev_b16 v80, 11, v0
	v_mul_lo_u16 v0, v80, 26
	s_delay_alu instid0(VALU_DEP_1) | instskip(NEXT) | instid1(VALU_DEP_1)
	v_sub_nc_u16 v0, v116, v0
	v_and_b32_e32 v81, 0xff, v0
	s_delay_alu instid0(VALU_DEP_1) | instskip(NEXT) | instid1(VALU_DEP_1)
	v_mul_u32_u24_e32 v0, 12, v81
	v_lshlrev_b32_e32 v50, 4, v0
	s_clause 0x1
	global_load_b128 v[0:3], v50, s[8:9] offset:384
	global_load_b128 v[8:11], v50, s[8:9] offset:400
	ds_load_b128 v[22:25], v130 offset:2496
	ds_load_b128 v[95:98], v130
	v_add_f64 v[147:148], v[20:21], v[167:168]
	s_waitcnt lgkmcnt(0)
	v_add_f64 v[181:182], v[95:96], v[18:19]
	v_add_f64 v[183:184], v[97:98], v[20:21]
	s_delay_alu instid0(VALU_DEP_2) | instskip(NEXT) | instid1(VALU_DEP_2)
	v_add_f64 v[56:57], v[181:182], v[56:57]
	v_add_f64 v[58:59], v[183:184], v[58:59]
	s_delay_alu instid0(VALU_DEP_2) | instskip(NEXT) | instid1(VALU_DEP_2)
	v_add_f64 v[56:57], v[56:57], v[60:61]
	v_add_f64 v[58:59], v[58:59], v[62:63]
	v_lshlrev_b32_e32 v60, 4, v82
	v_cndmask_b32_e64 v61, 0, 0x1520, s1
	s_delay_alu instid0(VALU_DEP_1) | instskip(SKIP_2) | instid1(VALU_DEP_2)
	v_add3_u32 v60, 0, v61, v60
	v_add_f64 v[56:57], v[56:57], v[64:65]
	v_add_f64 v[58:59], v[58:59], v[66:67]
	;; [unrolled: 1-line block ×3, first 2 shown]
	s_delay_alu instid0(VALU_DEP_2) | instskip(NEXT) | instid1(VALU_DEP_2)
	v_add_f64 v[58:59], v[58:59], v[70:71]
	v_add_f64 v[56:57], v[56:57], v[72:73]
	s_delay_alu instid0(VALU_DEP_2) | instskip(NEXT) | instid1(VALU_DEP_2)
	v_add_f64 v[58:59], v[58:59], v[76:77]
	v_add_f64 v[56:57], v[56:57], v[78:79]
	;; [unrolled: 3-line block ×3, first 2 shown]
	s_delay_alu instid0(VALU_DEP_2) | instskip(SKIP_3) | instid1(VALU_DEP_4)
	v_add_f64 v[58:59], v[58:59], v[151:152]
	s_waitcnt vmcnt(1)
	v_mul_f64 v[16:17], v[24:25], v[2:3]
	v_mul_f64 v[2:3], v[22:23], v[2:3]
	v_add_f64 v[56:57], v[56:57], v[153:154]
	s_delay_alu instid0(VALU_DEP_4) | instskip(NEXT) | instid1(VALU_DEP_4)
	v_add_f64 v[58:59], v[58:59], v[155:156]
	v_fma_f64 v[52:53], v[22:23], v[0:1], -v[16:17]
	s_delay_alu instid0(VALU_DEP_4)
	v_fma_f64 v[54:55], v[24:25], v[0:1], v[2:3]
	ds_load_b128 v[0:3], v130 offset:4160
	ds_load_b128 v[22:25], v130 offset:5824
	v_add_f64 v[56:57], v[56:57], v[157:158]
	v_add_f64 v[58:59], v[58:59], v[159:160]
	s_waitcnt vmcnt(0) lgkmcnt(1)
	v_mul_f64 v[16:17], v[2:3], v[10:11]
	s_delay_alu instid0(VALU_DEP_3) | instskip(NEXT) | instid1(VALU_DEP_3)
	v_add_f64 v[56:57], v[56:57], v[161:162]
	v_add_f64 v[58:59], v[58:59], v[163:164]
	s_delay_alu instid0(VALU_DEP_3) | instskip(SKIP_1) | instid1(VALU_DEP_4)
	v_fma_f64 v[30:31], v[0:1], v[8:9], -v[16:17]
	v_mul_f64 v[0:1], v[0:1], v[10:11]
	v_add_f64 v[56:57], v[56:57], v[165:166]
	s_delay_alu instid0(VALU_DEP_4) | instskip(NEXT) | instid1(VALU_DEP_3)
	v_add_f64 v[58:59], v[58:59], v[167:168]
	v_fma_f64 v[36:37], v[2:3], v[8:9], v[0:1]
	s_clause 0x1
	global_load_b128 v[0:3], v50, s[8:9] offset:416
	global_load_b128 v[8:11], v50, s[8:9] offset:432
	s_waitcnt vmcnt(1) lgkmcnt(0)
	v_mul_f64 v[16:17], v[24:25], v[2:3]
	v_mul_f64 v[2:3], v[22:23], v[2:3]
	s_delay_alu instid0(VALU_DEP_2) | instskip(NEXT) | instid1(VALU_DEP_2)
	v_fma_f64 v[26:27], v[22:23], v[0:1], -v[16:17]
	v_fma_f64 v[32:33], v[24:25], v[0:1], v[2:3]
	ds_load_b128 v[0:3], v130 offset:7488
	ds_load_b128 v[22:25], v130 offset:9152
	s_waitcnt vmcnt(0) lgkmcnt(1)
	v_mul_f64 v[16:17], v[2:3], v[10:11]
	s_delay_alu instid0(VALU_DEP_1) | instskip(SKIP_1) | instid1(VALU_DEP_1)
	v_fma_f64 v[16:17], v[0:1], v[8:9], -v[16:17]
	v_mul_f64 v[0:1], v[0:1], v[10:11]
	v_fma_f64 v[28:29], v[2:3], v[8:9], v[0:1]
	s_clause 0x1
	global_load_b128 v[0:3], v50, s[8:9] offset:448
	global_load_b128 v[99:102], v50, s[8:9] offset:464
	s_waitcnt vmcnt(1) lgkmcnt(0)
	v_mul_f64 v[8:9], v[24:25], v[2:3]
	v_mul_f64 v[2:3], v[22:23], v[2:3]
	s_delay_alu instid0(VALU_DEP_2) | instskip(NEXT) | instid1(VALU_DEP_2)
	v_fma_f64 v[8:9], v[22:23], v[0:1], -v[8:9]
	v_fma_f64 v[22:23], v[24:25], v[0:1], v[2:3]
	s_waitcnt vmcnt(0)
	v_mul_f64 v[0:1], v[40:41], v[101:102]
	v_mul_f64 v[2:3], v[38:39], v[101:102]
	s_delay_alu instid0(VALU_DEP_2) | instskip(NEXT) | instid1(VALU_DEP_2)
	v_fma_f64 v[0:1], v[38:39], v[99:100], -v[0:1]
	v_fma_f64 v[2:3], v[40:41], v[99:100], v[2:3]
	s_clause 0x1
	global_load_b128 v[38:41], v50, s[8:9] offset:480
	global_load_b128 v[99:102], v50, s[8:9] offset:496
	s_waitcnt vmcnt(1)
	v_mul_f64 v[10:11], v[44:45], v[40:41]
	v_mul_f64 v[24:25], v[42:43], v[40:41]
	s_waitcnt vmcnt(0)
	v_mul_f64 v[34:35], v[48:49], v[101:102]
	s_delay_alu instid0(VALU_DEP_3) | instskip(NEXT) | instid1(VALU_DEP_3)
	v_fma_f64 v[10:11], v[42:43], v[38:39], -v[10:11]
	v_fma_f64 v[24:25], v[44:45], v[38:39], v[24:25]
	v_mul_f64 v[38:39], v[46:47], v[101:102]
	s_delay_alu instid0(VALU_DEP_4) | instskip(NEXT) | instid1(VALU_DEP_4)
	v_fma_f64 v[34:35], v[46:47], v[99:100], -v[34:35]
	v_add_f64 v[161:162], v[0:1], v[10:11]
	s_delay_alu instid0(VALU_DEP_4) | instskip(NEXT) | instid1(VALU_DEP_4)
	v_add_f64 v[157:158], v[2:3], -v[24:25]
	v_fma_f64 v[38:39], v[48:49], v[99:100], v[38:39]
	s_clause 0x1
	global_load_b128 v[42:45], v50, s[8:9] offset:512
	global_load_b128 v[46:49], v50, s[8:9] offset:528
	v_add_f64 v[151:152], v[8:9], -v[34:35]
	v_add_f64 v[163:164], v[0:1], -v[10:11]
	v_add_f64 v[159:160], v[2:3], v[24:25]
	s_delay_alu instid0(VALU_DEP_3) | instskip(SKIP_3) | instid1(VALU_DEP_2)
	v_mul_f64 v[155:156], v[151:152], s[22:23]
	s_waitcnt vmcnt(1)
	v_mul_f64 v[40:41], v[85:86], v[44:45]
	v_mul_f64 v[44:45], v[83:84], v[44:45]
	v_fma_f64 v[40:41], v[83:84], v[42:43], -v[40:41]
	s_delay_alu instid0(VALU_DEP_2) | instskip(SKIP_3) | instid1(VALU_DEP_3)
	v_fma_f64 v[42:43], v[85:86], v[42:43], v[44:45]
	s_waitcnt vmcnt(0)
	v_mul_f64 v[44:45], v[89:90], v[48:49]
	v_mul_f64 v[48:49], v[87:88], v[48:49]
	v_add_f64 v[131:132], v[28:29], -v[42:43]
	s_delay_alu instid0(VALU_DEP_3) | instskip(NEXT) | instid1(VALU_DEP_3)
	v_fma_f64 v[44:45], v[87:88], v[46:47], -v[44:45]
	v_fma_f64 v[46:47], v[89:90], v[46:47], v[48:49]
	s_clause 0x1
	global_load_b128 v[83:86], v50, s[8:9] offset:544
	global_load_b128 v[87:90], v50, s[8:9] offset:560
	s_waitcnt vmcnt(0)
	s_barrier
	buffer_gl0_inv
	v_add_f64 v[137:138], v[28:29], v[42:43]
	v_mul_f64 v[48:49], v[93:94], v[85:86]
	v_mul_f64 v[74:75], v[6:7], v[89:90]
	;; [unrolled: 1-line block ×3, first 2 shown]
	s_delay_alu instid0(VALU_DEP_3) | instskip(NEXT) | instid1(VALU_DEP_3)
	v_fma_f64 v[48:49], v[91:92], v[83:84], -v[48:49]
	v_fma_f64 v[74:75], v[4:5], v[87:88], -v[74:75]
	v_mul_f64 v[4:5], v[4:5], v[89:90]
	s_delay_alu instid0(VALU_DEP_4) | instskip(SKIP_1) | instid1(VALU_DEP_3)
	v_fma_f64 v[50:51], v[93:94], v[83:84], v[50:51]
	v_add_f64 v[91:92], v[18:19], v[165:166]
	v_fma_f64 v[169:170], v[6:7], v[87:88], v[4:5]
	v_add_f64 v[4:5], v[20:21], -v[167:168]
	v_mul_f64 v[167:168], v[163:164], s[34:35]
	s_delay_alu instid0(VALU_DEP_2)
	v_mul_f64 v[6:7], v[4:5], s[42:43]
	v_mul_f64 v[83:84], v[4:5], s[24:25]
	;; [unrolled: 1-line block ×6, first 2 shown]
	v_fma_f64 v[93:94], v[91:92], s[18:19], -v[6:7]
	v_fma_f64 v[6:7], v[91:92], s[18:19], v[6:7]
	v_fma_f64 v[99:100], v[91:92], s[16:17], -v[83:84]
	v_fma_f64 v[83:84], v[91:92], s[16:17], v[83:84]
	;; [unrolled: 2-line block ×6, first 2 shown]
	v_add_f64 v[91:92], v[18:19], -v[165:166]
	v_mul_f64 v[165:166], v[157:158], s[34:35]
	v_add_f64 v[6:7], v[95:96], v[6:7]
	v_add_f64 v[20:21], v[95:96], v[99:100]
	v_add_f64 v[83:84], v[95:96], v[83:84]
	v_add_f64 v[101:102], v[95:96], v[101:102]
	v_add_f64 v[103:104], v[95:96], v[103:104]
	v_add_f64 v[105:106], v[95:96], v[105:106]
	v_add_f64 v[185:186], v[95:96], v[107:108]
	v_add_f64 v[187:188], v[95:96], v[4:5]
	v_mul_f64 v[109:110], v[91:92], s[42:43]
	v_fma_f64 v[4:5], v[193:194], s[16:17], v[195:196]
	v_mul_f64 v[139:140], v[91:92], s[24:25]
	v_mul_f64 v[143:144], v[91:92], s[20:21]
	;; [unrolled: 1-line block ×5, first 2 shown]
	v_fma_f64 v[149:150], v[147:148], s[18:19], v[109:110]
	v_fma_f64 v[109:110], v[147:148], s[18:19], -v[109:110]
	v_add_f64 v[4:5], v[4:5], v[6:7]
	v_fma_f64 v[6:7], v[199:200], s[16:17], -v[201:202]
	v_fma_f64 v[171:172], v[147:148], s[16:17], v[139:140]
	v_fma_f64 v[139:140], v[147:148], s[16:17], -v[139:140]
	v_fma_f64 v[175:176], v[147:148], s[12:13], v[143:144]
	v_fma_f64 v[177:178], v[147:148], s[10:11], v[145:146]
	;; [unrolled: 1-line block ×3, first 2 shown]
	v_fma_f64 v[141:142], v[147:148], s[14:15], -v[141:142]
	v_fma_f64 v[143:144], v[147:148], s[12:13], -v[143:144]
	;; [unrolled: 1-line block ×3, first 2 shown]
	v_fma_f64 v[179:180], v[147:148], s[4:5], v[91:92]
	v_fma_f64 v[91:92], v[147:148], s[4:5], -v[91:92]
	v_add_f64 v[147:148], v[95:96], v[93:94]
	v_add_f64 v[149:150], v[97:98], v[149:150]
	;; [unrolled: 1-line block ×6, first 2 shown]
	v_mul_f64 v[85:86], v[191:192], s[20:21]
	v_add_f64 v[171:172], v[97:98], v[175:176]
	v_add_f64 v[175:176], v[97:98], v[177:178]
	v_add_f64 v[177:178], v[95:96], v[89:90]
	v_mul_f64 v[89:90], v[203:204], s[34:35]
	v_add_f64 v[109:110], v[97:98], v[173:174]
	v_add_f64 v[173:174], v[95:96], v[87:88]
	v_add_f64 v[189:190], v[97:98], v[91:92]
	;; [unrolled: 4-line block ×3, first 2 shown]
	v_add_f64 v[179:180], v[97:98], v[179:180]
	v_add_f64 v[6:7], v[6:7], v[18:19]
	v_fma_f64 v[18:19], v[205:206], s[14:15], v[207:208]
	v_fma_f64 v[91:92], v[205:206], s[4:5], -v[89:90]
	s_delay_alu instid0(VALU_DEP_2) | instskip(SKIP_1) | instid1(VALU_DEP_1)
	v_add_f64 v[4:5], v[18:19], v[4:5]
	v_fma_f64 v[18:19], v[211:212], s[14:15], -v[213:214]
	v_add_f64 v[6:7], v[18:19], v[6:7]
	v_fma_f64 v[18:19], v[217:218], s[12:13], v[219:220]
	s_delay_alu instid0(VALU_DEP_1) | instskip(SKIP_1) | instid1(VALU_DEP_1)
	v_add_f64 v[4:5], v[18:19], v[4:5]
	v_fma_f64 v[18:19], v[223:224], s[12:13], -v[225:226]
	v_add_f64 v[6:7], v[18:19], v[6:7]
	v_fma_f64 v[18:19], v[229:230], s[10:11], v[231:232]
	s_delay_alu instid0(VALU_DEP_1) | instskip(SKIP_1) | instid1(VALU_DEP_1)
	;; [unrolled: 5-line block ×3, first 2 shown]
	v_add_f64 v[4:5], v[18:19], v[4:5]
	v_fma_f64 v[18:19], v[247:248], s[4:5], -v[249:250]
	v_add_f64 v[6:7], v[18:19], v[6:7]
	v_fma_f64 v[18:19], v[193:194], s[12:13], -v[85:86]
	v_fma_f64 v[85:86], v[193:194], s[12:13], v[85:86]
	s_delay_alu instid0(VALU_DEP_2) | instskip(SKIP_1) | instid1(VALU_DEP_3)
	v_add_f64 v[18:19], v[18:19], v[20:21]
	v_fma_f64 v[20:21], v[199:200], s[12:13], v[87:88]
	v_add_f64 v[83:84], v[85:86], v[83:84]
	v_fma_f64 v[85:86], v[199:200], s[12:13], -v[87:88]
	v_fma_f64 v[87:88], v[205:206], s[4:5], v[89:90]
	v_add_f64 v[18:19], v[91:92], v[18:19]
	v_mul_f64 v[91:92], v[209:210], s[34:35]
	v_add_f64 v[20:21], v[20:21], v[93:94]
	v_add_f64 v[85:86], v[85:86], v[99:100]
	;; [unrolled: 1-line block ×3, first 2 shown]
	s_delay_alu instid0(VALU_DEP_4) | instskip(SKIP_2) | instid1(VALU_DEP_3)
	v_fma_f64 v[93:94], v[211:212], s[4:5], v[91:92]
	v_fma_f64 v[87:88], v[211:212], s[4:5], -v[91:92]
	v_mul_f64 v[91:92], v[191:192], s[34:35]
	v_add_f64 v[20:21], v[93:94], v[20:21]
	v_mul_f64 v[93:94], v[215:216], s[36:37]
	s_delay_alu instid0(VALU_DEP_4) | instskip(NEXT) | instid1(VALU_DEP_2)
	v_add_f64 v[85:86], v[87:88], v[85:86]
	v_fma_f64 v[95:96], v[217:218], s[10:11], -v[93:94]
	v_fma_f64 v[87:88], v[217:218], s[10:11], v[93:94]
	v_mul_f64 v[93:94], v[197:198], s[34:35]
	s_delay_alu instid0(VALU_DEP_3) | instskip(SKIP_1) | instid1(VALU_DEP_4)
	v_add_f64 v[18:19], v[95:96], v[18:19]
	v_mul_f64 v[95:96], v[221:222], s[36:37]
	v_add_f64 v[83:84], v[87:88], v[83:84]
	s_delay_alu instid0(VALU_DEP_2) | instskip(SKIP_2) | instid1(VALU_DEP_3)
	v_fma_f64 v[97:98], v[223:224], s[10:11], v[95:96]
	v_fma_f64 v[87:88], v[223:224], s[10:11], -v[95:96]
	v_mul_f64 v[95:96], v[203:204], s[44:45]
	v_add_f64 v[20:21], v[97:98], v[20:21]
	v_mul_f64 v[97:98], v[227:228], s[28:29]
	s_delay_alu instid0(VALU_DEP_4) | instskip(NEXT) | instid1(VALU_DEP_2)
	v_add_f64 v[85:86], v[87:88], v[85:86]
	v_fma_f64 v[107:108], v[229:230], s[14:15], -v[97:98]
	v_fma_f64 v[87:88], v[229:230], s[14:15], v[97:98]
	v_fma_f64 v[97:98], v[205:206], s[12:13], -v[95:96]
	v_fma_f64 v[95:96], v[205:206], s[12:13], v[95:96]
	s_delay_alu instid0(VALU_DEP_4) | instskip(SKIP_2) | instid1(VALU_DEP_2)
	v_add_f64 v[18:19], v[107:108], v[18:19]
	v_mul_f64 v[107:108], v[233:234], s[28:29]
	v_add_f64 v[83:84], v[87:88], v[83:84]
	v_fma_f64 v[251:252], v[235:236], s[14:15], v[107:108]
	v_fma_f64 v[87:88], v[235:236], s[14:15], -v[107:108]
	s_delay_alu instid0(VALU_DEP_2) | instskip(SKIP_1) | instid1(VALU_DEP_3)
	v_add_f64 v[20:21], v[251:252], v[20:21]
	v_mul_f64 v[251:252], v[239:240], s[30:31]
	v_add_f64 v[85:86], v[87:88], v[85:86]
	s_delay_alu instid0(VALU_DEP_2) | instskip(SKIP_1) | instid1(VALU_DEP_2)
	v_fma_f64 v[253:254], v[241:242], s[18:19], -v[251:252]
	v_fma_f64 v[87:88], v[241:242], s[18:19], v[251:252]
	v_add_f64 v[18:19], v[253:254], v[18:19]
	v_mul_f64 v[253:254], v[245:246], s[30:31]
	s_delay_alu instid0(VALU_DEP_3) | instskip(SKIP_2) | instid1(VALU_DEP_4)
	v_add_f64 v[83:84], v[87:88], v[83:84]
	v_fma_f64 v[87:88], v[193:194], s[4:5], -v[91:92]
	v_fma_f64 v[91:92], v[193:194], s[4:5], v[91:92]
	v_fma_f64 v[89:90], v[247:248], s[18:19], -v[253:254]
	v_fma_f64 v[120:121], v[247:248], s[18:19], v[253:254]
	s_delay_alu instid0(VALU_DEP_4) | instskip(NEXT) | instid1(VALU_DEP_4)
	v_add_f64 v[87:88], v[87:88], v[101:102]
	v_add_f64 v[91:92], v[91:92], v[139:140]
	s_delay_alu instid0(VALU_DEP_4) | instskip(SKIP_1) | instid1(VALU_DEP_4)
	v_add_f64 v[85:86], v[89:90], v[85:86]
	v_fma_f64 v[89:90], v[199:200], s[4:5], v[93:94]
	v_add_f64 v[87:88], v[97:98], v[87:88]
	v_mul_f64 v[97:98], v[209:210], s[44:45]
	v_fma_f64 v[93:94], v[199:200], s[4:5], -v[93:94]
	v_add_f64 v[91:92], v[95:96], v[91:92]
	v_add_f64 v[20:21], v[120:121], v[20:21]
	v_add_f64 v[89:90], v[89:90], v[109:110]
	v_fma_f64 v[99:100], v[211:212], s[12:13], v[97:98]
	v_add_f64 v[93:94], v[93:94], v[141:142]
	v_fma_f64 v[95:96], v[211:212], s[12:13], -v[97:98]
	s_delay_alu instid0(VALU_DEP_3) | instskip(SKIP_1) | instid1(VALU_DEP_3)
	v_add_f64 v[89:90], v[99:100], v[89:90]
	v_mul_f64 v[99:100], v[215:216], s[30:31]
	v_add_f64 v[93:94], v[95:96], v[93:94]
	s_delay_alu instid0(VALU_DEP_2) | instskip(SKIP_2) | instid1(VALU_DEP_3)
	v_fma_f64 v[101:102], v[217:218], s[18:19], -v[99:100]
	v_fma_f64 v[95:96], v[217:218], s[18:19], v[99:100]
	v_mul_f64 v[99:100], v[191:192], s[36:37]
	v_add_f64 v[87:88], v[101:102], v[87:88]
	v_mul_f64 v[101:102], v[221:222], s[30:31]
	s_delay_alu instid0(VALU_DEP_4) | instskip(NEXT) | instid1(VALU_DEP_2)
	v_add_f64 v[91:92], v[95:96], v[91:92]
	v_fma_f64 v[107:108], v[223:224], s[18:19], v[101:102]
	v_fma_f64 v[95:96], v[223:224], s[18:19], -v[101:102]
	v_mul_f64 v[101:102], v[197:198], s[36:37]
	s_delay_alu instid0(VALU_DEP_3) | instskip(SKIP_1) | instid1(VALU_DEP_4)
	v_add_f64 v[89:90], v[107:108], v[89:90]
	v_mul_f64 v[107:108], v[227:228], s[24:25]
	v_add_f64 v[93:94], v[95:96], v[93:94]
	s_delay_alu instid0(VALU_DEP_2) | instskip(SKIP_1) | instid1(VALU_DEP_2)
	v_fma_f64 v[109:110], v[229:230], s[16:17], -v[107:108]
	v_fma_f64 v[95:96], v[229:230], s[16:17], v[107:108]
	v_add_f64 v[87:88], v[109:110], v[87:88]
	v_mul_f64 v[109:110], v[233:234], s[24:25]
	s_delay_alu instid0(VALU_DEP_3) | instskip(NEXT) | instid1(VALU_DEP_2)
	v_add_f64 v[91:92], v[95:96], v[91:92]
	v_fma_f64 v[120:121], v[235:236], s[16:17], v[109:110]
	v_fma_f64 v[95:96], v[235:236], s[16:17], -v[109:110]
	s_delay_alu instid0(VALU_DEP_2) | instskip(SKIP_1) | instid1(VALU_DEP_3)
	v_add_f64 v[89:90], v[120:121], v[89:90]
	v_mul_f64 v[120:121], v[239:240], s[22:23]
	v_add_f64 v[93:94], v[95:96], v[93:94]
	s_delay_alu instid0(VALU_DEP_2) | instskip(SKIP_1) | instid1(VALU_DEP_2)
	v_fma_f64 v[95:96], v[241:242], s[10:11], v[120:121]
	v_fma_f64 v[251:252], v[241:242], s[10:11], -v[120:121]
	v_add_f64 v[91:92], v[95:96], v[91:92]
	v_fma_f64 v[95:96], v[193:194], s[10:11], -v[99:100]
	s_delay_alu instid0(VALU_DEP_3) | instskip(SKIP_2) | instid1(VALU_DEP_4)
	v_add_f64 v[87:88], v[251:252], v[87:88]
	v_mul_f64 v[251:252], v[245:246], s[22:23]
	v_fma_f64 v[99:100], v[193:194], s[10:11], v[99:100]
	v_add_f64 v[95:96], v[95:96], v[103:104]
	v_mul_f64 v[103:104], v[203:204], s[30:31]
	s_delay_alu instid0(VALU_DEP_4) | instskip(NEXT) | instid1(VALU_DEP_4)
	v_fma_f64 v[97:98], v[247:248], s[10:11], -v[251:252]
	v_add_f64 v[99:100], v[99:100], v[173:174]
	v_fma_f64 v[253:254], v[247:248], s[10:11], v[251:252]
	s_delay_alu instid0(VALU_DEP_4) | instskip(NEXT) | instid1(VALU_DEP_4)
	v_fma_f64 v[107:108], v[205:206], s[18:19], -v[103:104]
	v_add_f64 v[93:94], v[97:98], v[93:94]
	v_fma_f64 v[97:98], v[199:200], s[10:11], v[101:102]
	v_fma_f64 v[101:102], v[199:200], s[10:11], -v[101:102]
	v_fma_f64 v[103:104], v[205:206], s[18:19], v[103:104]
	v_add_f64 v[89:90], v[253:254], v[89:90]
	v_add_f64 v[95:96], v[107:108], v[95:96]
	v_mul_f64 v[107:108], v[209:210], s[30:31]
	v_add_f64 v[97:98], v[97:98], v[171:172]
	v_add_f64 v[101:102], v[101:102], v[143:144]
	;; [unrolled: 1-line block ×3, first 2 shown]
	s_delay_alu instid0(VALU_DEP_4) | instskip(SKIP_1) | instid1(VALU_DEP_2)
	v_fma_f64 v[109:110], v[211:212], s[18:19], v[107:108]
	v_fma_f64 v[103:104], v[211:212], s[18:19], -v[107:108]
	v_add_f64 v[97:98], v[109:110], v[97:98]
	v_mul_f64 v[109:110], v[215:216], s[26:27]
	s_delay_alu instid0(VALU_DEP_3) | instskip(NEXT) | instid1(VALU_DEP_2)
	v_add_f64 v[101:102], v[103:104], v[101:102]
	v_fma_f64 v[120:121], v[217:218], s[14:15], -v[109:110]
	v_fma_f64 v[103:104], v[217:218], s[14:15], v[109:110]
	v_mul_f64 v[109:110], v[197:198], s[28:29]
	s_delay_alu instid0(VALU_DEP_3) | instskip(SKIP_1) | instid1(VALU_DEP_4)
	v_add_f64 v[95:96], v[120:121], v[95:96]
	v_mul_f64 v[120:121], v[221:222], s[26:27]
	v_add_f64 v[99:100], v[103:104], v[99:100]
	s_delay_alu instid0(VALU_DEP_2) | instskip(SKIP_2) | instid1(VALU_DEP_3)
	v_fma_f64 v[139:140], v[223:224], s[14:15], v[120:121]
	v_fma_f64 v[103:104], v[223:224], s[14:15], -v[120:121]
	v_mul_f64 v[120:121], v[203:204], s[24:25]
	v_add_f64 v[97:98], v[139:140], v[97:98]
	v_mul_f64 v[139:140], v[227:228], s[40:41]
	s_delay_alu instid0(VALU_DEP_4) | instskip(NEXT) | instid1(VALU_DEP_2)
	v_add_f64 v[101:102], v[103:104], v[101:102]
	v_fma_f64 v[141:142], v[229:230], s[4:5], -v[139:140]
	v_fma_f64 v[103:104], v[229:230], s[4:5], v[139:140]
	v_fma_f64 v[139:140], v[205:206], s[16:17], -v[120:121]
	v_fma_f64 v[120:121], v[205:206], s[16:17], v[120:121]
	s_delay_alu instid0(VALU_DEP_4) | instskip(SKIP_2) | instid1(VALU_DEP_2)
	v_add_f64 v[95:96], v[141:142], v[95:96]
	v_mul_f64 v[141:142], v[233:234], s[40:41]
	v_add_f64 v[99:100], v[103:104], v[99:100]
	v_fma_f64 v[171:172], v[235:236], s[4:5], v[141:142]
	v_fma_f64 v[103:104], v[235:236], s[4:5], -v[141:142]
	s_delay_alu instid0(VALU_DEP_2) | instskip(SKIP_1) | instid1(VALU_DEP_3)
	v_add_f64 v[97:98], v[171:172], v[97:98]
	v_mul_f64 v[171:172], v[239:240], s[38:39]
	v_add_f64 v[101:102], v[103:104], v[101:102]
	s_delay_alu instid0(VALU_DEP_2) | instskip(SKIP_1) | instid1(VALU_DEP_2)
	v_fma_f64 v[251:252], v[241:242], s[16:17], -v[171:172]
	v_fma_f64 v[103:104], v[241:242], s[16:17], v[171:172]
	v_add_f64 v[95:96], v[251:252], v[95:96]
	v_mul_f64 v[251:252], v[245:246], s[38:39]
	s_delay_alu instid0(VALU_DEP_3) | instskip(NEXT) | instid1(VALU_DEP_2)
	v_add_f64 v[99:100], v[103:104], v[99:100]
	v_fma_f64 v[107:108], v[247:248], s[16:17], -v[251:252]
	v_fma_f64 v[253:254], v[247:248], s[16:17], v[251:252]
	s_delay_alu instid0(VALU_DEP_2) | instskip(SKIP_1) | instid1(VALU_DEP_3)
	v_add_f64 v[101:102], v[107:108], v[101:102]
	v_mul_f64 v[107:108], v[191:192], s[28:29]
	v_add_f64 v[97:98], v[253:254], v[97:98]
	s_delay_alu instid0(VALU_DEP_2) | instskip(SKIP_1) | instid1(VALU_DEP_2)
	v_fma_f64 v[103:104], v[193:194], s[14:15], -v[107:108]
	v_fma_f64 v[107:108], v[193:194], s[14:15], v[107:108]
	v_add_f64 v[103:104], v[103:104], v[105:106]
	v_fma_f64 v[105:106], v[199:200], s[14:15], v[109:110]
	s_delay_alu instid0(VALU_DEP_3) | instskip(SKIP_1) | instid1(VALU_DEP_4)
	v_add_f64 v[107:108], v[107:108], v[177:178]
	v_fma_f64 v[109:110], v[199:200], s[14:15], -v[109:110]
	v_add_f64 v[103:104], v[139:140], v[103:104]
	v_mul_f64 v[139:140], v[209:210], s[24:25]
	v_add_f64 v[105:106], v[105:106], v[175:176]
	s_delay_alu instid0(VALU_DEP_4) | instskip(SKIP_4) | instid1(VALU_DEP_2)
	v_add_f64 v[109:110], v[109:110], v[145:146]
	v_add_f64 v[107:108], v[120:121], v[107:108]
	v_mul_f64 v[145:146], v[203:204], s[22:23]
	v_fma_f64 v[141:142], v[211:212], s[16:17], v[139:140]
	v_fma_f64 v[120:121], v[211:212], s[16:17], -v[139:140]
	v_add_f64 v[105:106], v[141:142], v[105:106]
	v_mul_f64 v[141:142], v[215:216], s[40:41]
	s_delay_alu instid0(VALU_DEP_3) | instskip(NEXT) | instid1(VALU_DEP_2)
	v_add_f64 v[109:110], v[120:121], v[109:110]
	v_fma_f64 v[143:144], v[217:218], s[4:5], -v[141:142]
	v_fma_f64 v[120:121], v[217:218], s[4:5], v[141:142]
	s_delay_alu instid0(VALU_DEP_2) | instskip(SKIP_1) | instid1(VALU_DEP_3)
	v_add_f64 v[103:104], v[143:144], v[103:104]
	v_mul_f64 v[143:144], v[221:222], s[40:41]
	v_add_f64 v[107:108], v[120:121], v[107:108]
	s_delay_alu instid0(VALU_DEP_2) | instskip(SKIP_2) | instid1(VALU_DEP_3)
	v_fma_f64 v[171:172], v[223:224], s[4:5], v[143:144]
	v_fma_f64 v[120:121], v[223:224], s[4:5], -v[143:144]
	v_mul_f64 v[143:144], v[197:198], s[30:31]
	v_add_f64 v[105:106], v[171:172], v[105:106]
	v_mul_f64 v[171:172], v[227:228], s[30:31]
	s_delay_alu instid0(VALU_DEP_4) | instskip(NEXT) | instid1(VALU_DEP_4)
	v_add_f64 v[109:110], v[120:121], v[109:110]
	v_fma_f64 v[141:142], v[199:200], s[18:19], v[143:144]
	v_fma_f64 v[143:144], v[199:200], s[18:19], -v[143:144]
	s_delay_alu instid0(VALU_DEP_4)
	v_fma_f64 v[173:174], v[229:230], s[18:19], -v[171:172]
	v_fma_f64 v[120:121], v[229:230], s[18:19], v[171:172]
	v_fma_f64 v[171:172], v[205:206], s[10:11], -v[145:146]
	v_add_f64 v[141:142], v[141:142], v[179:180]
	v_fma_f64 v[145:146], v[205:206], s[10:11], v[145:146]
	v_add_f64 v[143:144], v[143:144], v[189:190]
	v_add_f64 v[103:104], v[173:174], v[103:104]
	v_mul_f64 v[173:174], v[233:234], s[30:31]
	v_add_f64 v[107:108], v[120:121], v[107:108]
	s_delay_alu instid0(VALU_DEP_2) | instskip(SKIP_1) | instid1(VALU_DEP_2)
	v_fma_f64 v[175:176], v[235:236], s[18:19], v[173:174]
	v_fma_f64 v[120:121], v[235:236], s[18:19], -v[173:174]
	v_add_f64 v[105:106], v[175:176], v[105:106]
	v_mul_f64 v[175:176], v[239:240], s[20:21]
	s_delay_alu instid0(VALU_DEP_3) | instskip(NEXT) | instid1(VALU_DEP_2)
	v_add_f64 v[109:110], v[120:121], v[109:110]
	v_fma_f64 v[251:252], v[241:242], s[12:13], -v[175:176]
	v_fma_f64 v[120:121], v[241:242], s[12:13], v[175:176]
	s_delay_alu instid0(VALU_DEP_2) | instskip(SKIP_1) | instid1(VALU_DEP_3)
	v_add_f64 v[103:104], v[251:252], v[103:104]
	v_mul_f64 v[251:252], v[245:246], s[20:21]
	v_add_f64 v[107:108], v[120:121], v[107:108]
	v_mul_f64 v[120:121], v[191:192], s[30:31]
	v_mul_f64 v[191:192], v[245:246], s[28:29]
	s_delay_alu instid0(VALU_DEP_4) | instskip(SKIP_1) | instid1(VALU_DEP_2)
	v_fma_f64 v[139:140], v[247:248], s[12:13], -v[251:252]
	v_fma_f64 v[253:254], v[247:248], s[12:13], v[251:252]
	v_add_f64 v[109:110], v[139:140], v[109:110]
	v_fma_f64 v[139:140], v[193:194], s[18:19], -v[120:121]
	v_fma_f64 v[120:121], v[193:194], s[18:19], v[120:121]
	s_delay_alu instid0(VALU_DEP_4) | instskip(NEXT) | instid1(VALU_DEP_3)
	v_add_f64 v[105:106], v[253:254], v[105:106]
	v_add_f64 v[139:140], v[139:140], v[185:186]
	s_delay_alu instid0(VALU_DEP_3) | instskip(NEXT) | instid1(VALU_DEP_2)
	v_add_f64 v[120:121], v[120:121], v[187:188]
	v_add_f64 v[139:140], v[171:172], v[139:140]
	v_mul_f64 v[171:172], v[209:210], s[22:23]
	s_delay_alu instid0(VALU_DEP_3) | instskip(NEXT) | instid1(VALU_DEP_2)
	v_add_f64 v[120:121], v[145:146], v[120:121]
	v_fma_f64 v[173:174], v[211:212], s[10:11], v[171:172]
	v_fma_f64 v[145:146], v[211:212], s[10:11], -v[171:172]
	v_fma_f64 v[171:172], v[247:248], s[14:15], -v[191:192]
	s_delay_alu instid0(VALU_DEP_3) | instskip(SKIP_1) | instid1(VALU_DEP_4)
	v_add_f64 v[141:142], v[173:174], v[141:142]
	v_mul_f64 v[173:174], v[215:216], s[38:39]
	v_add_f64 v[143:144], v[145:146], v[143:144]
	s_delay_alu instid0(VALU_DEP_2) | instskip(SKIP_2) | instid1(VALU_DEP_3)
	v_fma_f64 v[175:176], v[217:218], s[16:17], -v[173:174]
	v_fma_f64 v[145:146], v[217:218], s[16:17], v[173:174]
	v_fma_f64 v[173:174], v[205:206], s[14:15], -v[207:208]
	v_add_f64 v[139:140], v[175:176], v[139:140]
	v_mul_f64 v[175:176], v[221:222], s[38:39]
	s_delay_alu instid0(VALU_DEP_4) | instskip(NEXT) | instid1(VALU_DEP_2)
	v_add_f64 v[120:121], v[145:146], v[120:121]
	v_fma_f64 v[177:178], v[223:224], s[16:17], v[175:176]
	v_fma_f64 v[145:146], v[223:224], s[16:17], -v[175:176]
	v_fma_f64 v[175:176], v[211:212], s[14:15], v[213:214]
	s_delay_alu instid0(VALU_DEP_3) | instskip(SKIP_1) | instid1(VALU_DEP_4)
	v_add_f64 v[141:142], v[177:178], v[141:142]
	v_mul_f64 v[177:178], v[227:228], s[20:21]
	v_add_f64 v[143:144], v[145:146], v[143:144]
	s_delay_alu instid0(VALU_DEP_2) | instskip(SKIP_1) | instid1(VALU_DEP_2)
	v_fma_f64 v[179:180], v[229:230], s[12:13], -v[177:178]
	v_fma_f64 v[145:146], v[229:230], s[12:13], v[177:178]
	v_add_f64 v[139:140], v[179:180], v[139:140]
	v_mul_f64 v[179:180], v[233:234], s[20:21]
	s_delay_alu instid0(VALU_DEP_3) | instskip(NEXT) | instid1(VALU_DEP_2)
	v_add_f64 v[120:121], v[145:146], v[120:121]
	v_fma_f64 v[185:186], v[235:236], s[12:13], v[179:180]
	v_fma_f64 v[145:146], v[235:236], s[12:13], -v[179:180]
	s_delay_alu instid0(VALU_DEP_2) | instskip(SKIP_1) | instid1(VALU_DEP_3)
	v_add_f64 v[141:142], v[185:186], v[141:142]
	v_mul_f64 v[185:186], v[239:240], s[28:29]
	v_add_f64 v[145:146], v[145:146], v[143:144]
	s_delay_alu instid0(VALU_DEP_2) | instskip(NEXT) | instid1(VALU_DEP_2)
	v_fma_f64 v[143:144], v[241:242], s[14:15], v[185:186]
	v_add_f64 v[145:146], v[171:172], v[145:146]
	v_fma_f64 v[171:172], v[199:200], s[16:17], v[201:202]
	v_fma_f64 v[197:198], v[241:242], s[14:15], -v[185:186]
	s_delay_alu instid0(VALU_DEP_4) | instskip(SKIP_1) | instid1(VALU_DEP_3)
	v_add_f64 v[143:144], v[143:144], v[120:121]
	v_fma_f64 v[120:121], v[193:194], s[16:17], -v[195:196]
	v_add_f64 v[139:140], v[197:198], v[139:140]
	v_fma_f64 v[197:198], v[247:248], s[14:15], v[191:192]
	s_delay_alu instid0(VALU_DEP_3)
	v_add_f64 v[120:121], v[120:121], v[147:148]
	v_add_f64 v[147:148], v[171:172], v[149:150]
	v_fma_f64 v[149:150], v[217:218], s[12:13], -v[219:220]
	v_fma_f64 v[171:172], v[223:224], s[12:13], v[225:226]
	v_add_f64 v[141:142], v[197:198], v[141:142]
	v_add_f64 v[120:121], v[173:174], v[120:121]
	v_add_f64 v[147:148], v[175:176], v[147:148]
	v_fma_f64 v[173:174], v[229:230], s[10:11], -v[231:232]
	v_fma_f64 v[175:176], v[235:236], s[10:11], v[237:238]
	s_delay_alu instid0(VALU_DEP_4) | instskip(NEXT) | instid1(VALU_DEP_4)
	v_add_f64 v[120:121], v[149:150], v[120:121]
	v_add_f64 v[147:148], v[171:172], v[147:148]
	v_fma_f64 v[149:150], v[241:242], s[4:5], -v[243:244]
	v_fma_f64 v[171:172], v[247:248], s[4:5], v[249:250]
	s_delay_alu instid0(VALU_DEP_4) | instskip(NEXT) | instid1(VALU_DEP_4)
	v_add_f64 v[120:121], v[173:174], v[120:121]
	v_add_f64 v[173:174], v[175:176], v[147:148]
	s_delay_alu instid0(VALU_DEP_2) | instskip(NEXT) | instid1(VALU_DEP_2)
	v_add_f64 v[147:148], v[149:150], v[120:121]
	v_add_f64 v[149:150], v[171:172], v[173:174]
	ds_store_b128 v60, v[18:21] offset:832
	ds_store_b128 v60, v[87:90] offset:1248
	;; [unrolled: 1-line block ×12, first 2 shown]
	ds_store_b128 v60, v[56:59]
	v_add_f64 v[4:5], v[14:15], v[54:55]
	v_add_f64 v[6:7], v[12:13], v[52:53]
	v_add_f64 v[56:57], v[54:55], -v[169:170]
	v_add_f64 v[54:55], v[54:55], v[169:170]
	v_add_f64 v[102:103], v[30:31], v[48:49]
	;; [unrolled: 1-line block ×5, first 2 shown]
	v_mul_f64 v[141:142], v[131:132], s[20:21]
	v_add_f64 v[145:146], v[22:23], -v[38:39]
	v_add_f64 v[149:150], v[8:9], v[34:35]
	v_add_f64 v[147:148], v[22:23], v[38:39]
	;; [unrolled: 1-line block ×4, first 2 shown]
	v_mul_f64 v[58:59], v[56:57], s[24:25]
	v_mul_f64 v[60:61], v[56:57], s[26:27]
	;; [unrolled: 1-line block ×5, first 2 shown]
	v_add_f64 v[4:5], v[4:5], v[32:33]
	v_add_f64 v[6:7], v[6:7], v[26:27]
	s_delay_alu instid0(VALU_DEP_2) | instskip(NEXT) | instid1(VALU_DEP_2)
	v_add_f64 v[4:5], v[4:5], v[28:29]
	v_add_f64 v[6:7], v[6:7], v[16:17]
	v_add_f64 v[16:17], v[16:17], -v[40:41]
	v_mul_f64 v[28:29], v[131:132], s[36:37]
	s_delay_alu instid0(VALU_DEP_4) | instskip(NEXT) | instid1(VALU_DEP_4)
	v_add_f64 v[4:5], v[4:5], v[22:23]
	v_add_f64 v[6:7], v[6:7], v[8:9]
	s_delay_alu instid0(VALU_DEP_4) | instskip(SKIP_1) | instid1(VALU_DEP_4)
	v_mul_f64 v[143:144], v[16:17], s[20:21]
	v_fma_f64 v[8:9], v[149:150], s[10:11], -v[153:154]
	v_add_f64 v[4:5], v[4:5], v[2:3]
	s_delay_alu instid0(VALU_DEP_4) | instskip(SKIP_1) | instid1(VALU_DEP_3)
	v_add_f64 v[6:7], v[6:7], v[0:1]
	v_fma_f64 v[0:1], v[161:162], s[4:5], -v[165:166]
	v_add_f64 v[4:5], v[4:5], v[24:25]
	s_delay_alu instid0(VALU_DEP_3) | instskip(NEXT) | instid1(VALU_DEP_2)
	v_add_f64 v[6:7], v[6:7], v[10:11]
	v_add_f64 v[4:5], v[4:5], v[38:39]
	s_delay_alu instid0(VALU_DEP_2) | instskip(SKIP_1) | instid1(VALU_DEP_3)
	v_add_f64 v[6:7], v[6:7], v[34:35]
	v_mul_f64 v[34:35], v[151:152], s[28:29]
	v_add_f64 v[4:5], v[4:5], v[42:43]
	s_delay_alu instid0(VALU_DEP_3) | instskip(NEXT) | instid1(VALU_DEP_2)
	v_add_f64 v[6:7], v[6:7], v[40:41]
	v_add_f64 v[4:5], v[4:5], v[46:47]
	s_delay_alu instid0(VALU_DEP_2) | instskip(NEXT) | instid1(VALU_DEP_2)
	v_add_f64 v[6:7], v[6:7], v[44:45]
	v_add_f64 v[4:5], v[4:5], v[50:51]
	s_delay_alu instid0(VALU_DEP_2) | instskip(SKIP_2) | instid1(VALU_DEP_4)
	v_add_f64 v[6:7], v[6:7], v[48:49]
	v_add_f64 v[48:49], v[30:31], -v[48:49]
	v_mul_f64 v[30:31], v[16:17], s[36:37]
	v_add_f64 v[20:21], v[4:5], v[169:170]
	s_delay_alu instid0(VALU_DEP_4)
	v_add_f64 v[18:19], v[6:7], v[74:75]
	v_add_f64 v[4:5], v[52:53], v[74:75]
	v_add_f64 v[6:7], v[52:53], -v[74:75]
	v_mul_f64 v[52:53], v[56:57], s[42:43]
	v_mul_f64 v[56:57], v[56:57], s[34:35]
	;; [unrolled: 1-line block ×3, first 2 shown]
	v_fma_f64 v[68:69], v[4:5], s[16:17], -v[58:59]
	v_fma_f64 v[58:59], v[4:5], s[16:17], v[58:59]
	v_fma_f64 v[66:67], v[4:5], s[18:19], -v[52:53]
	v_fma_f64 v[52:53], v[4:5], s[18:19], v[52:53]
	;; [unrolled: 2-line block ×6, first 2 shown]
	v_mul_f64 v[56:57], v[6:7], s[42:43]
	v_mul_f64 v[78:79], v[6:7], s[24:25]
	;; [unrolled: 1-line block ×6, first 2 shown]
	v_add_f64 v[58:59], v[12:13], v[58:59]
	v_add_f64 v[70:71], v[12:13], v[70:71]
	;; [unrolled: 1-line block ×9, first 2 shown]
	v_fma_f64 v[88:89], v[54:55], s[18:19], v[56:57]
	v_fma_f64 v[90:91], v[54:55], s[16:17], v[78:79]
	;; [unrolled: 1-line block ×6, first 2 shown]
	v_fma_f64 v[56:57], v[54:55], s[18:19], -v[56:57]
	v_fma_f64 v[78:79], v[54:55], s[16:17], -v[78:79]
	;; [unrolled: 1-line block ×6, first 2 shown]
	v_add_f64 v[54:55], v[12:13], v[66:67]
	v_add_f64 v[66:67], v[14:15], v[88:89]
	;; [unrolled: 1-line block ×9, first 2 shown]
	v_add_f64 v[98:99], v[36:37], -v[50:51]
	v_add_f64 v[56:57], v[14:15], v[56:57]
	v_add_f64 v[78:79], v[14:15], v[78:79]
	;; [unrolled: 1-line block ×6, first 2 shown]
	v_add_f64 v[50:51], v[32:33], -v[46:47]
	v_mul_f64 v[36:37], v[157:158], s[30:31]
	v_mul_f64 v[104:105], v[98:99], s[24:25]
	s_delay_alu instid0(VALU_DEP_3) | instskip(SKIP_1) | instid1(VALU_DEP_3)
	v_mul_f64 v[108:109], v[50:51], s[26:27]
	v_mul_f64 v[24:25], v[50:51], s[34:35]
	v_fma_f64 v[12:13], v[102:103], s[16:17], -v[104:105]
	s_delay_alu instid0(VALU_DEP_1) | instskip(SKIP_1) | instid1(VALU_DEP_1)
	v_add_f64 v[12:13], v[12:13], v[54:55]
	v_mul_f64 v[54:55], v[48:49], s[24:25]
	v_fma_f64 v[14:15], v[100:101], s[16:17], v[54:55]
	s_delay_alu instid0(VALU_DEP_1) | instskip(SKIP_4) | instid1(VALU_DEP_3)
	v_add_f64 v[14:15], v[14:15], v[66:67]
	v_add_f64 v[66:67], v[32:33], v[46:47]
	v_add_f64 v[46:47], v[26:27], -v[44:45]
	v_fma_f64 v[26:27], v[106:107], s[14:15], -v[108:109]
	v_mul_f64 v[32:33], v[145:146], s[28:29]
	v_mul_f64 v[120:121], v[46:47], s[26:27]
	s_delay_alu instid0(VALU_DEP_3) | instskip(NEXT) | instid1(VALU_DEP_2)
	v_add_f64 v[12:13], v[26:27], v[12:13]
	v_fma_f64 v[26:27], v[66:67], s[14:15], v[120:121]
	s_delay_alu instid0(VALU_DEP_1) | instskip(SKIP_1) | instid1(VALU_DEP_1)
	v_add_f64 v[14:15], v[26:27], v[14:15]
	v_fma_f64 v[26:27], v[139:140], s[12:13], -v[141:142]
	v_add_f64 v[12:13], v[26:27], v[12:13]
	v_fma_f64 v[26:27], v[137:138], s[12:13], v[143:144]
	s_delay_alu instid0(VALU_DEP_2) | instskip(NEXT) | instid1(VALU_DEP_2)
	v_add_f64 v[8:9], v[8:9], v[12:13]
	v_add_f64 v[14:15], v[26:27], v[14:15]
	v_fma_f64 v[12:13], v[147:148], s[10:11], v[155:156]
	v_mul_f64 v[26:27], v[46:47], s[34:35]
	s_delay_alu instid0(VALU_DEP_4) | instskip(SKIP_1) | instid1(VALU_DEP_4)
	v_add_f64 v[8:9], v[0:1], v[8:9]
	v_fma_f64 v[0:1], v[159:160], s[4:5], v[167:168]
	v_add_f64 v[12:13], v[12:13], v[14:15]
	v_fma_f64 v[14:15], v[106:107], s[4:5], -v[24:25]
	v_fma_f64 v[24:25], v[106:107], s[4:5], v[24:25]
	s_delay_alu instid0(VALU_DEP_3) | instskip(SKIP_3) | instid1(VALU_DEP_3)
	v_add_f64 v[10:11], v[0:1], v[12:13]
	v_mul_f64 v[0:1], v[98:99], s[20:21]
	v_fma_f64 v[12:13], v[100:101], s[12:13], v[22:23]
	v_fma_f64 v[22:23], v[100:101], s[12:13], -v[22:23]
	v_fma_f64 v[2:3], v[102:103], s[12:13], -v[0:1]
	s_delay_alu instid0(VALU_DEP_3) | instskip(SKIP_1) | instid1(VALU_DEP_4)
	v_add_f64 v[12:13], v[12:13], v[68:69]
	v_fma_f64 v[0:1], v[102:103], s[12:13], v[0:1]
	v_add_f64 v[22:23], v[22:23], v[78:79]
	s_delay_alu instid0(VALU_DEP_4) | instskip(NEXT) | instid1(VALU_DEP_3)
	v_add_f64 v[2:3], v[2:3], v[52:53]
	v_add_f64 v[0:1], v[0:1], v[58:59]
	s_delay_alu instid0(VALU_DEP_2) | instskip(SKIP_1) | instid1(VALU_DEP_3)
	v_add_f64 v[2:3], v[14:15], v[2:3]
	v_fma_f64 v[14:15], v[66:67], s[4:5], v[26:27]
	v_add_f64 v[0:1], v[24:25], v[0:1]
	v_fma_f64 v[24:25], v[66:67], s[4:5], -v[26:27]
	v_mul_f64 v[26:27], v[98:99], s[34:35]
	s_delay_alu instid0(VALU_DEP_4) | instskip(SKIP_1) | instid1(VALU_DEP_4)
	v_add_f64 v[12:13], v[14:15], v[12:13]
	v_fma_f64 v[14:15], v[139:140], s[10:11], -v[28:29]
	v_add_f64 v[22:23], v[24:25], v[22:23]
	v_fma_f64 v[24:25], v[139:140], s[10:11], v[28:29]
	v_mul_f64 v[28:29], v[48:49], s[34:35]
	s_delay_alu instid0(VALU_DEP_4) | instskip(SKIP_1) | instid1(VALU_DEP_4)
	v_add_f64 v[2:3], v[14:15], v[2:3]
	v_fma_f64 v[14:15], v[137:138], s[10:11], v[30:31]
	v_add_f64 v[0:1], v[24:25], v[0:1]
	v_fma_f64 v[24:25], v[137:138], s[10:11], -v[30:31]
	v_mul_f64 v[30:31], v[50:51], s[44:45]
	s_delay_alu instid0(VALU_DEP_4) | instskip(SKIP_1) | instid1(VALU_DEP_4)
	v_add_f64 v[12:13], v[14:15], v[12:13]
	v_fma_f64 v[14:15], v[149:150], s[14:15], -v[32:33]
	v_add_f64 v[22:23], v[24:25], v[22:23]
	v_fma_f64 v[24:25], v[149:150], s[14:15], v[32:33]
	v_fma_f64 v[32:33], v[106:107], s[12:13], -v[30:31]
	v_fma_f64 v[30:31], v[106:107], s[12:13], v[30:31]
	v_add_f64 v[2:3], v[14:15], v[2:3]
	v_fma_f64 v[14:15], v[147:148], s[14:15], v[34:35]
	v_add_f64 v[0:1], v[24:25], v[0:1]
	v_fma_f64 v[24:25], v[147:148], s[14:15], -v[34:35]
	s_delay_alu instid0(VALU_DEP_3) | instskip(SKIP_1) | instid1(VALU_DEP_3)
	v_add_f64 v[14:15], v[14:15], v[12:13]
	v_fma_f64 v[12:13], v[161:162], s[18:19], -v[36:37]
	v_add_f64 v[22:23], v[24:25], v[22:23]
	v_fma_f64 v[24:25], v[161:162], s[18:19], v[36:37]
	s_delay_alu instid0(VALU_DEP_3) | instskip(SKIP_1) | instid1(VALU_DEP_3)
	v_add_f64 v[12:13], v[12:13], v[2:3]
	v_mul_f64 v[2:3], v[163:164], s[30:31]
	v_add_f64 v[0:1], v[24:25], v[0:1]
	v_fma_f64 v[24:25], v[100:101], s[4:5], v[28:29]
	v_fma_f64 v[28:29], v[100:101], s[4:5], -v[28:29]
	s_delay_alu instid0(VALU_DEP_4) | instskip(SKIP_1) | instid1(VALU_DEP_4)
	v_fma_f64 v[38:39], v[159:160], s[18:19], v[2:3]
	v_fma_f64 v[2:3], v[159:160], s[18:19], -v[2:3]
	v_add_f64 v[24:25], v[24:25], v[90:91]
	s_delay_alu instid0(VALU_DEP_4) | instskip(NEXT) | instid1(VALU_DEP_4)
	v_add_f64 v[28:29], v[28:29], v[82:83]
	v_add_f64 v[14:15], v[38:39], v[14:15]
	s_delay_alu instid0(VALU_DEP_4) | instskip(SKIP_2) | instid1(VALU_DEP_2)
	v_add_f64 v[2:3], v[2:3], v[22:23]
	v_fma_f64 v[22:23], v[102:103], s[4:5], -v[26:27]
	v_fma_f64 v[26:27], v[102:103], s[4:5], v[26:27]
	v_add_f64 v[22:23], v[22:23], v[70:71]
	s_delay_alu instid0(VALU_DEP_2) | instskip(NEXT) | instid1(VALU_DEP_2)
	v_add_f64 v[26:27], v[26:27], v[60:61]
	v_add_f64 v[22:23], v[32:33], v[22:23]
	v_mul_f64 v[32:33], v[46:47], s[44:45]
	s_delay_alu instid0(VALU_DEP_3) | instskip(NEXT) | instid1(VALU_DEP_2)
	v_add_f64 v[26:27], v[30:31], v[26:27]
	v_fma_f64 v[34:35], v[66:67], s[12:13], v[32:33]
	v_fma_f64 v[30:31], v[66:67], s[12:13], -v[32:33]
	s_delay_alu instid0(VALU_DEP_2) | instskip(SKIP_1) | instid1(VALU_DEP_3)
	v_add_f64 v[24:25], v[34:35], v[24:25]
	v_mul_f64 v[34:35], v[131:132], s[30:31]
	v_add_f64 v[28:29], v[30:31], v[28:29]
	s_delay_alu instid0(VALU_DEP_2) | instskip(SKIP_2) | instid1(VALU_DEP_3)
	v_fma_f64 v[36:37], v[139:140], s[18:19], -v[34:35]
	v_fma_f64 v[30:31], v[139:140], s[18:19], v[34:35]
	v_mul_f64 v[34:35], v[98:99], s[36:37]
	v_add_f64 v[22:23], v[36:37], v[22:23]
	v_mul_f64 v[36:37], v[16:17], s[30:31]
	s_delay_alu instid0(VALU_DEP_4) | instskip(NEXT) | instid1(VALU_DEP_2)
	v_add_f64 v[26:27], v[30:31], v[26:27]
	v_fma_f64 v[38:39], v[137:138], s[18:19], v[36:37]
	v_fma_f64 v[30:31], v[137:138], s[18:19], -v[36:37]
	v_mul_f64 v[36:37], v[48:49], s[36:37]
	s_delay_alu instid0(VALU_DEP_3) | instskip(SKIP_1) | instid1(VALU_DEP_4)
	v_add_f64 v[24:25], v[38:39], v[24:25]
	v_mul_f64 v[38:39], v[145:146], s[24:25]
	v_add_f64 v[28:29], v[30:31], v[28:29]
	s_delay_alu instid0(VALU_DEP_2) | instskip(SKIP_2) | instid1(VALU_DEP_3)
	v_fma_f64 v[40:41], v[149:150], s[16:17], -v[38:39]
	v_fma_f64 v[30:31], v[149:150], s[16:17], v[38:39]
	v_mul_f64 v[38:39], v[50:51], s[30:31]
	v_add_f64 v[22:23], v[40:41], v[22:23]
	v_mul_f64 v[40:41], v[151:152], s[24:25]
	s_delay_alu instid0(VALU_DEP_4) | instskip(NEXT) | instid1(VALU_DEP_2)
	v_add_f64 v[26:27], v[30:31], v[26:27]
	v_fma_f64 v[42:43], v[147:148], s[16:17], v[40:41]
	v_fma_f64 v[30:31], v[147:148], s[16:17], -v[40:41]
	v_fma_f64 v[40:41], v[106:107], s[18:19], -v[38:39]
	v_fma_f64 v[38:39], v[106:107], s[18:19], v[38:39]
	s_delay_alu instid0(VALU_DEP_4) | instskip(SKIP_2) | instid1(VALU_DEP_2)
	v_add_f64 v[24:25], v[42:43], v[24:25]
	v_mul_f64 v[42:43], v[157:158], s[22:23]
	v_add_f64 v[28:29], v[30:31], v[28:29]
	v_fma_f64 v[44:45], v[161:162], s[10:11], -v[42:43]
	v_fma_f64 v[30:31], v[161:162], s[10:11], v[42:43]
	s_delay_alu instid0(VALU_DEP_2) | instskip(SKIP_1) | instid1(VALU_DEP_3)
	v_add_f64 v[22:23], v[44:45], v[22:23]
	v_mul_f64 v[44:45], v[163:164], s[22:23]
	v_add_f64 v[26:27], v[30:31], v[26:27]
	v_fma_f64 v[30:31], v[102:103], s[10:11], -v[34:35]
	v_fma_f64 v[34:35], v[102:103], s[10:11], v[34:35]
	s_delay_alu instid0(VALU_DEP_4) | instskip(SKIP_1) | instid1(VALU_DEP_4)
	v_fma_f64 v[32:33], v[159:160], s[10:11], -v[44:45]
	v_fma_f64 v[52:53], v[159:160], s[10:11], v[44:45]
	v_add_f64 v[30:31], v[30:31], v[72:73]
	s_delay_alu instid0(VALU_DEP_4) | instskip(NEXT) | instid1(VALU_DEP_4)
	v_add_f64 v[34:35], v[34:35], v[62:63]
	v_add_f64 v[28:29], v[32:33], v[28:29]
	v_fma_f64 v[32:33], v[100:101], s[10:11], v[36:37]
	s_delay_alu instid0(VALU_DEP_4)
	v_add_f64 v[30:31], v[40:41], v[30:31]
	v_mul_f64 v[40:41], v[46:47], s[30:31]
	v_add_f64 v[24:25], v[52:53], v[24:25]
	v_fma_f64 v[36:37], v[100:101], s[10:11], -v[36:37]
	v_add_f64 v[34:35], v[38:39], v[34:35]
	v_add_f64 v[32:33], v[32:33], v[92:93]
	v_fma_f64 v[42:43], v[66:67], s[18:19], v[40:41]
	v_fma_f64 v[38:39], v[66:67], s[18:19], -v[40:41]
	v_add_f64 v[36:37], v[36:37], v[84:85]
	s_delay_alu instid0(VALU_DEP_3) | instskip(SKIP_1) | instid1(VALU_DEP_3)
	v_add_f64 v[32:33], v[42:43], v[32:33]
	v_mul_f64 v[42:43], v[131:132], s[26:27]
	v_add_f64 v[36:37], v[38:39], v[36:37]
	s_delay_alu instid0(VALU_DEP_2) | instskip(SKIP_2) | instid1(VALU_DEP_3)
	v_fma_f64 v[44:45], v[139:140], s[14:15], -v[42:43]
	v_fma_f64 v[38:39], v[139:140], s[14:15], v[42:43]
	v_mul_f64 v[42:43], v[98:99], s[28:29]
	v_add_f64 v[30:31], v[44:45], v[30:31]
	v_mul_f64 v[44:45], v[16:17], s[26:27]
	s_delay_alu instid0(VALU_DEP_4) | instskip(NEXT) | instid1(VALU_DEP_2)
	v_add_f64 v[34:35], v[38:39], v[34:35]
	v_fma_f64 v[52:53], v[137:138], s[14:15], v[44:45]
	v_fma_f64 v[38:39], v[137:138], s[14:15], -v[44:45]
	v_mul_f64 v[44:45], v[48:49], s[28:29]
	s_delay_alu instid0(VALU_DEP_3) | instskip(SKIP_1) | instid1(VALU_DEP_4)
	v_add_f64 v[32:33], v[52:53], v[32:33]
	v_mul_f64 v[52:53], v[145:146], s[40:41]
	v_add_f64 v[36:37], v[38:39], v[36:37]
	s_delay_alu instid0(VALU_DEP_2) | instskip(SKIP_3) | instid1(VALU_DEP_4)
	v_fma_f64 v[58:59], v[149:150], s[4:5], -v[52:53]
	v_fma_f64 v[38:39], v[149:150], s[4:5], v[52:53]
	v_mul_f64 v[52:53], v[50:51], s[24:25]
	v_mul_f64 v[50:51], v[50:51], s[22:23]
	v_add_f64 v[30:31], v[58:59], v[30:31]
	v_mul_f64 v[58:59], v[151:152], s[40:41]
	v_add_f64 v[34:35], v[38:39], v[34:35]
	s_delay_alu instid0(VALU_DEP_2) | instskip(SKIP_3) | instid1(VALU_DEP_4)
	v_fma_f64 v[60:61], v[147:148], s[4:5], v[58:59]
	v_fma_f64 v[38:39], v[147:148], s[4:5], -v[58:59]
	v_fma_f64 v[58:59], v[106:107], s[16:17], -v[52:53]
	v_fma_f64 v[52:53], v[106:107], s[16:17], v[52:53]
	v_add_f64 v[32:33], v[60:61], v[32:33]
	v_mul_f64 v[60:61], v[157:158], s[38:39]
	v_add_f64 v[36:37], v[38:39], v[36:37]
	s_delay_alu instid0(VALU_DEP_2) | instskip(SKIP_1) | instid1(VALU_DEP_2)
	v_fma_f64 v[68:69], v[161:162], s[16:17], -v[60:61]
	v_fma_f64 v[38:39], v[161:162], s[16:17], v[60:61]
	v_add_f64 v[30:31], v[68:69], v[30:31]
	v_mul_f64 v[68:69], v[163:164], s[38:39]
	s_delay_alu instid0(VALU_DEP_3) | instskip(SKIP_2) | instid1(VALU_DEP_4)
	v_add_f64 v[34:35], v[38:39], v[34:35]
	v_fma_f64 v[38:39], v[102:103], s[14:15], -v[42:43]
	v_fma_f64 v[42:43], v[102:103], s[14:15], v[42:43]
	v_fma_f64 v[40:41], v[159:160], s[16:17], -v[68:69]
	v_fma_f64 v[70:71], v[159:160], s[16:17], v[68:69]
	s_delay_alu instid0(VALU_DEP_4) | instskip(NEXT) | instid1(VALU_DEP_4)
	v_add_f64 v[38:39], v[38:39], v[74:75]
	v_add_f64 v[42:43], v[42:43], v[64:65]
	v_mul_f64 v[64:65], v[131:132], s[38:39]
	v_add_f64 v[36:37], v[40:41], v[36:37]
	v_fma_f64 v[40:41], v[100:101], s[14:15], v[44:45]
	v_add_f64 v[38:39], v[58:59], v[38:39]
	v_mul_f64 v[58:59], v[46:47], s[24:25]
	v_fma_f64 v[44:45], v[100:101], s[14:15], -v[44:45]
	v_add_f64 v[32:33], v[70:71], v[32:33]
	v_add_f64 v[42:43], v[52:53], v[42:43]
	;; [unrolled: 1-line block ×3, first 2 shown]
	v_fma_f64 v[60:61], v[66:67], s[16:17], v[58:59]
	v_add_f64 v[44:45], v[44:45], v[86:87]
	v_fma_f64 v[52:53], v[66:67], s[16:17], -v[58:59]
	s_delay_alu instid0(VALU_DEP_3) | instskip(SKIP_1) | instid1(VALU_DEP_3)
	v_add_f64 v[40:41], v[60:61], v[40:41]
	v_mul_f64 v[60:61], v[131:132], s[40:41]
	v_add_f64 v[44:45], v[52:53], v[44:45]
	s_delay_alu instid0(VALU_DEP_2) | instskip(SKIP_2) | instid1(VALU_DEP_3)
	v_fma_f64 v[62:63], v[139:140], s[4:5], -v[60:61]
	v_fma_f64 v[52:53], v[139:140], s[4:5], v[60:61]
	v_mul_f64 v[60:61], v[48:49], s[30:31]
	v_add_f64 v[38:39], v[62:63], v[38:39]
	v_mul_f64 v[62:63], v[16:17], s[40:41]
	s_delay_alu instid0(VALU_DEP_4) | instskip(NEXT) | instid1(VALU_DEP_4)
	v_add_f64 v[42:43], v[52:53], v[42:43]
	v_fma_f64 v[48:49], v[100:101], s[18:19], v[60:61]
	v_mul_f64 v[16:17], v[16:17], s[38:39]
	s_delay_alu instid0(VALU_DEP_4)
	v_fma_f64 v[68:69], v[137:138], s[4:5], v[62:63]
	v_fma_f64 v[52:53], v[137:138], s[4:5], -v[62:63]
	v_fma_f64 v[62:63], v[106:107], s[10:11], -v[50:51]
	v_add_f64 v[48:49], v[48:49], v[96:97]
	v_fma_f64 v[50:51], v[106:107], s[10:11], v[50:51]
	v_add_f64 v[40:41], v[68:69], v[40:41]
	v_mul_f64 v[68:69], v[145:146], s[30:31]
	v_add_f64 v[44:45], v[52:53], v[44:45]
	s_delay_alu instid0(VALU_DEP_2) | instskip(SKIP_1) | instid1(VALU_DEP_2)
	v_fma_f64 v[70:71], v[149:150], s[18:19], -v[68:69]
	v_fma_f64 v[52:53], v[149:150], s[18:19], v[68:69]
	v_add_f64 v[38:39], v[70:71], v[38:39]
	v_mul_f64 v[70:71], v[151:152], s[30:31]
	s_delay_alu instid0(VALU_DEP_3) | instskip(NEXT) | instid1(VALU_DEP_2)
	v_add_f64 v[42:43], v[52:53], v[42:43]
	v_fma_f64 v[72:73], v[147:148], s[18:19], v[70:71]
	v_fma_f64 v[52:53], v[147:148], s[18:19], -v[70:71]
	s_delay_alu instid0(VALU_DEP_2) | instskip(SKIP_1) | instid1(VALU_DEP_3)
	v_add_f64 v[40:41], v[72:73], v[40:41]
	v_mul_f64 v[72:73], v[157:158], s[20:21]
	v_add_f64 v[44:45], v[52:53], v[44:45]
	s_delay_alu instid0(VALU_DEP_2) | instskip(SKIP_2) | instid1(VALU_DEP_3)
	v_fma_f64 v[74:75], v[161:162], s[12:13], -v[72:73]
	v_fma_f64 v[52:53], v[161:162], s[12:13], v[72:73]
	v_mul_f64 v[72:73], v[157:158], s[28:29]
	v_add_f64 v[38:39], v[74:75], v[38:39]
	v_mul_f64 v[74:75], v[163:164], s[20:21]
	s_delay_alu instid0(VALU_DEP_4) | instskip(SKIP_1) | instid1(VALU_DEP_3)
	v_add_f64 v[42:43], v[52:53], v[42:43]
	v_mul_f64 v[52:53], v[98:99], s[30:31]
	v_fma_f64 v[58:59], v[159:160], s[12:13], -v[74:75]
	v_fma_f64 v[78:79], v[159:160], s[12:13], v[74:75]
	v_mul_f64 v[74:75], v[163:164], s[28:29]
	s_delay_alu instid0(VALU_DEP_3) | instskip(SKIP_3) | instid1(VALU_DEP_3)
	v_add_f64 v[44:45], v[58:59], v[44:45]
	v_fma_f64 v[58:59], v[102:103], s[18:19], -v[52:53]
	v_fma_f64 v[52:53], v[102:103], s[18:19], v[52:53]
	v_add_f64 v[40:41], v[78:79], v[40:41]
	v_add_f64 v[58:59], v[58:59], v[76:77]
	s_delay_alu instid0(VALU_DEP_3) | instskip(SKIP_1) | instid1(VALU_DEP_3)
	v_add_f64 v[4:5], v[52:53], v[4:5]
	v_fma_f64 v[52:53], v[100:101], s[18:19], -v[60:61]
	v_add_f64 v[58:59], v[62:63], v[58:59]
	v_mul_f64 v[62:63], v[46:47], s[22:23]
	s_delay_alu instid0(VALU_DEP_3) | instskip(SKIP_2) | instid1(VALU_DEP_4)
	v_add_f64 v[6:7], v[52:53], v[6:7]
	v_add_f64 v[4:5], v[50:51], v[4:5]
	v_fma_f64 v[52:53], v[159:160], s[14:15], -v[74:75]
	v_fma_f64 v[46:47], v[66:67], s[10:11], v[62:63]
	v_fma_f64 v[50:51], v[66:67], s[10:11], -v[62:63]
	s_delay_alu instid0(VALU_DEP_2) | instskip(SKIP_1) | instid1(VALU_DEP_3)
	v_add_f64 v[46:47], v[46:47], v[48:49]
	v_fma_f64 v[48:49], v[139:140], s[16:17], -v[64:65]
	v_add_f64 v[6:7], v[50:51], v[6:7]
	v_fma_f64 v[50:51], v[139:140], s[16:17], v[64:65]
	s_delay_alu instid0(VALU_DEP_3) | instskip(SKIP_2) | instid1(VALU_DEP_4)
	v_add_f64 v[48:49], v[48:49], v[58:59]
	v_fma_f64 v[58:59], v[137:138], s[16:17], v[16:17]
	v_fma_f64 v[16:17], v[137:138], s[16:17], -v[16:17]
	v_add_f64 v[4:5], v[50:51], v[4:5]
	s_delay_alu instid0(VALU_DEP_3) | instskip(SKIP_1) | instid1(VALU_DEP_4)
	v_add_f64 v[46:47], v[58:59], v[46:47]
	v_mul_f64 v[58:59], v[145:146], s[20:21]
	v_add_f64 v[6:7], v[16:17], v[6:7]
	s_delay_alu instid0(VALU_DEP_2) | instskip(SKIP_1) | instid1(VALU_DEP_2)
	v_fma_f64 v[68:69], v[149:150], s[12:13], -v[58:59]
	v_fma_f64 v[16:17], v[149:150], s[12:13], v[58:59]
	v_add_f64 v[48:49], v[68:69], v[48:49]
	v_mul_f64 v[68:69], v[151:152], s[20:21]
	s_delay_alu instid0(VALU_DEP_3) | instskip(NEXT) | instid1(VALU_DEP_2)
	v_add_f64 v[4:5], v[16:17], v[4:5]
	v_fma_f64 v[16:17], v[147:148], s[12:13], -v[68:69]
	v_fma_f64 v[70:71], v[147:148], s[12:13], v[68:69]
	s_delay_alu instid0(VALU_DEP_2) | instskip(SKIP_1) | instid1(VALU_DEP_3)
	v_add_f64 v[6:7], v[16:17], v[6:7]
	v_fma_f64 v[16:17], v[161:162], s[14:15], v[72:73]
	v_add_f64 v[70:71], v[70:71], v[46:47]
	v_fma_f64 v[46:47], v[161:162], s[14:15], -v[72:73]
	s_delay_alu instid0(VALU_DEP_4) | instskip(NEXT) | instid1(VALU_DEP_4)
	v_add_f64 v[52:53], v[52:53], v[6:7]
	v_add_f64 v[50:51], v[16:17], v[4:5]
	v_fma_f64 v[4:5], v[102:103], s[16:17], v[104:105]
	v_fma_f64 v[6:7], v[100:101], s[16:17], -v[54:55]
	v_fma_f64 v[16:17], v[106:107], s[14:15], v[108:109]
	v_fma_f64 v[54:55], v[66:67], s[14:15], -v[120:121]
	v_add_f64 v[46:47], v[46:47], v[48:49]
	v_fma_f64 v[48:49], v[159:160], s[14:15], v[74:75]
	v_add_f64 v[4:5], v[4:5], v[88:89]
	v_add_f64 v[6:7], v[6:7], v[56:57]
	s_delay_alu instid0(VALU_DEP_3) | instskip(NEXT) | instid1(VALU_DEP_3)
	v_add_f64 v[48:49], v[48:49], v[70:71]
	v_add_f64 v[4:5], v[16:17], v[4:5]
	s_delay_alu instid0(VALU_DEP_3) | instskip(SKIP_4) | instid1(VALU_DEP_4)
	v_add_f64 v[6:7], v[54:55], v[6:7]
	v_fma_f64 v[16:17], v[139:140], s[12:13], v[141:142]
	v_fma_f64 v[54:55], v[137:138], s[12:13], -v[143:144]
	v_lshl_add_u32 v141, v126, 4, 0
	v_lshl_add_u32 v140, v124, 4, 0
	v_add_f64 v[4:5], v[16:17], v[4:5]
	s_delay_alu instid0(VALU_DEP_4) | instskip(SKIP_2) | instid1(VALU_DEP_2)
	v_add_f64 v[6:7], v[54:55], v[6:7]
	v_fma_f64 v[16:17], v[149:150], s[10:11], v[153:154]
	v_fma_f64 v[54:55], v[147:148], s[10:11], -v[155:156]
	v_add_f64 v[4:5], v[16:17], v[4:5]
	s_delay_alu instid0(VALU_DEP_2) | instskip(SKIP_2) | instid1(VALU_DEP_2)
	v_add_f64 v[6:7], v[54:55], v[6:7]
	v_fma_f64 v[16:17], v[161:162], s[4:5], v[165:166]
	v_fma_f64 v[54:55], v[159:160], s[4:5], -v[167:168]
	v_add_f64 v[4:5], v[16:17], v[4:5]
	s_delay_alu instid0(VALU_DEP_2) | instskip(SKIP_2) | instid1(VALU_DEP_2)
	v_add_f64 v[6:7], v[54:55], v[6:7]
	v_and_b32_e32 v16, 0xffff, v80
	v_lshlrev_b32_e32 v17, 4, v81
	v_mul_u32_u24_e32 v16, 0x1520, v16
	s_delay_alu instid0(VALU_DEP_1)
	v_add3_u32 v16, 0, v16, v17
	ds_store_b128 v16, v[18:21]
	ds_store_b128 v16, v[8:11] offset:416
	ds_store_b128 v16, v[12:15] offset:832
	;; [unrolled: 1-line block ×10, first 2 shown]
	v_sub_nc_u32_e32 v8, 0, v117
	ds_store_b128 v16, v[0:3] offset:4576
	ds_store_b128 v16, v[4:7] offset:4992
	v_add_nc_u32_e32 v139, v111, v8
	s_waitcnt lgkmcnt(0)
	s_barrier
	buffer_gl0_inv
	ds_load_b128 v[24:27], v130
	ds_load_b128 v[100:103], v130 offset:5408
	ds_load_b128 v[88:91], v130 offset:6240
	;; [unrolled: 1-line block ×7, first 2 shown]
	ds_load_b128 v[28:31], v136
	ds_load_b128 v[16:19], v135
	ds_load_b128 v[76:79], v130 offset:7904
	ds_load_b128 v[40:43], v130 offset:8736
	;; [unrolled: 1-line block ×6, first 2 shown]
	ds_load_b128 v[32:35], v141
	ds_load_b128 v[20:23], v140
	ds_load_b128 v[104:107], v130 offset:10816
	ds_load_b128 v[52:55], v130 offset:9568
	ds_load_b128 v[108:111], v130 offset:16224
	ds_load_b128 v[56:59], v130 offset:14976
	ds_load_b128 v[36:39], v134
	ds_load_b128 v[60:63], v130 offset:20384
                                        ; implicit-def: $vgpr10_vgpr11
                                        ; implicit-def: $vgpr14_vgpr15
	s_and_saveexec_b32 s1, s0
	s_cbranch_execz .LBB0_15
; %bb.14:
	ds_load_b128 v[4:7], v130 offset:10400
	ds_load_b128 v[8:11], v130 offset:15808
	ds_load_b128 v[0:3], v139
	ds_load_b128 v[12:15], v130 offset:21216
	v_mov_b32_e32 v113, v123
.LBB0_15:
	s_or_b32 exec_lo, exec_lo, s1
	v_mul_u32_u24_e32 v117, 3, v112
	v_mul_i32_i24_e32 v128, 3, v116
	s_delay_alu instid0(VALU_DEP_2) | instskip(NEXT) | instid1(VALU_DEP_2)
	v_lshlrev_b32_e32 v117, 4, v117
	v_lshlrev_b64 v[120:121], 4, v[128:129]
	s_delay_alu instid0(VALU_DEP_2) | instskip(NEXT) | instid1(VALU_DEP_1)
	v_add_co_u32 v117, s1, s8, v117
	v_add_co_ci_u32_e64 v128, null, s9, 0, s1
	s_delay_alu instid0(VALU_DEP_3) | instskip(NEXT) | instid1(VALU_DEP_1)
	v_add_co_u32 v133, s1, s8, v120
	v_add_co_ci_u32_e64 v142, s1, s9, v121, s1
	s_delay_alu instid0(VALU_DEP_4) | instskip(NEXT) | instid1(VALU_DEP_1)
	v_add_co_u32 v120, s1, 0x1500, v117
	v_add_co_ci_u32_e64 v121, s1, 0, v128, s1
	v_add_co_u32 v131, s1, 0x1000, v117
	s_delay_alu instid0(VALU_DEP_1) | instskip(SKIP_4) | instid1(VALU_DEP_1)
	v_add_co_ci_u32_e64 v132, s1, 0, v128, s1
	v_add_co_u32 v137, s1, 0x1000, v133
	v_mul_i32_i24_e32 v128, 3, v127
	v_add_co_ci_u32_e64 v138, s1, 0, v142, s1
	v_add_co_u32 v162, s1, 0x1500, v133
	v_add_co_ci_u32_e64 v163, s1, 0, v142, s1
	s_clause 0x1
	global_load_b128 v[142:145], v[120:121], off offset:32
	global_load_b128 v[146:149], v[120:121], off offset:16
	v_lshlrev_b64 v[120:121], 4, v[128:129]
	v_mul_i32_i24_e32 v128, 3, v126
	s_clause 0x3
	global_load_b128 v[150:153], v[137:138], off offset:1280
	global_load_b128 v[154:157], v[162:163], off offset:32
	;; [unrolled: 1-line block ×4, first 2 shown]
	v_add_co_u32 v117, s1, s8, v120
	s_delay_alu instid0(VALU_DEP_1) | instskip(SKIP_1) | instid1(VALU_DEP_3)
	v_add_co_ci_u32_e64 v133, s1, s9, v121, s1
	v_lshlrev_b64 v[120:121], 4, v[128:129]
	v_add_co_u32 v131, s1, 0x1500, v117
	s_delay_alu instid0(VALU_DEP_1) | instskip(SKIP_1) | instid1(VALU_DEP_4)
	v_add_co_ci_u32_e64 v132, s1, 0, v133, s1
	v_mul_i32_i24_e32 v128, 3, v125
	v_add_co_u32 v166, s1, s8, v120
	s_delay_alu instid0(VALU_DEP_1) | instskip(SKIP_1) | instid1(VALU_DEP_1)
	v_add_co_ci_u32_e64 v167, s1, s9, v121, s1
	v_add_co_u32 v120, s1, 0x1000, v117
	v_add_co_ci_u32_e64 v121, s1, 0, v133, s1
	s_delay_alu instid0(VALU_DEP_4) | instskip(NEXT) | instid1(VALU_DEP_1)
	v_add_co_u32 v137, s1, 0x1000, v166
	v_add_co_ci_u32_e64 v138, s1, 0, v167, s1
	v_add_co_u32 v186, s1, 0x1500, v166
	s_delay_alu instid0(VALU_DEP_1)
	v_add_co_ci_u32_e64 v187, s1, 0, v167, s1
	s_clause 0x1
	global_load_b128 v[166:169], v[131:132], off offset:32
	global_load_b128 v[170:173], v[131:132], off offset:16
	v_lshlrev_b64 v[131:132], 4, v[128:129]
	v_mul_i32_i24_e32 v128, 3, v124
	s_clause 0x3
	global_load_b128 v[174:177], v[137:138], off offset:1280
	global_load_b128 v[178:181], v[186:187], off offset:32
	;; [unrolled: 1-line block ×4, first 2 shown]
	v_add_co_u32 v117, s1, s8, v131
	s_delay_alu instid0(VALU_DEP_1) | instskip(SKIP_1) | instid1(VALU_DEP_3)
	v_add_co_ci_u32_e64 v132, s1, s9, v132, s1
	v_lshlrev_b64 v[128:129], 4, v[128:129]
	v_add_co_u32 v120, s1, 0x1000, v117
	s_delay_alu instid0(VALU_DEP_1) | instskip(SKIP_1) | instid1(VALU_DEP_1)
	v_add_co_ci_u32_e64 v121, s1, 0, v132, s1
	v_add_co_u32 v131, s1, 0x1500, v117
	v_add_co_ci_u32_e64 v132, s1, 0, v132, s1
	v_add_co_u32 v117, s1, s8, v128
	s_delay_alu instid0(VALU_DEP_1) | instskip(SKIP_4) | instid1(VALU_DEP_1)
	v_add_co_ci_u32_e64 v129, s1, s9, v129, s1
	s_clause 0x1
	global_load_b128 v[190:193], v[120:121], off offset:1280
	global_load_b128 v[194:197], v[131:132], off offset:16
	v_add_co_u32 v120, s1, 0x1000, v117
	v_add_co_ci_u32_e64 v121, s1, 0, v129, s1
	v_add_co_u32 v128, s1, 0x1500, v117
	s_delay_alu instid0(VALU_DEP_1)
	v_add_co_ci_u32_e64 v129, s1, 0, v129, s1
	s_clause 0x3
	global_load_b128 v[198:201], v[131:132], off offset:32
	global_load_b128 v[202:205], v[120:121], off offset:1280
	;; [unrolled: 1-line block ×4, first 2 shown]
	s_waitcnt vmcnt(0) lgkmcnt(0)
	s_barrier
	buffer_gl0_inv
	v_mul_f64 v[131:132], v[106:107], v[148:149]
	v_mul_f64 v[137:138], v[104:105], v[148:149]
	;; [unrolled: 1-line block ×24, first 2 shown]
	v_fma_f64 v[100:101], v[100:101], v[158:159], -v[120:121]
	v_fma_f64 v[102:103], v[102:103], v[158:159], v[128:129]
	v_fma_f64 v[104:105], v[104:105], v[146:147], -v[131:132]
	v_fma_f64 v[106:107], v[106:107], v[146:147], v[137:138]
	;; [unrolled: 2-line block ×6, first 2 shown]
	v_mul_f64 v[230:231], v[42:43], v[192:193]
	v_mul_f64 v[192:193], v[40:41], v[192:193]
	;; [unrolled: 1-line block ×12, first 2 shown]
	v_fma_f64 v[64:65], v[64:65], v[182:183], -v[218:219]
	v_fma_f64 v[66:67], v[66:67], v[182:183], v[184:185]
	v_fma_f64 v[68:69], v[68:69], v[170:171], -v[220:221]
	v_fma_f64 v[70:71], v[70:71], v[170:171], v[172:173]
	;; [unrolled: 2-line block ×6, first 2 shown]
	v_add_f64 v[104:105], v[24:25], -v[104:105]
	v_add_f64 v[106:107], v[26:27], -v[106:107]
	v_add_f64 v[108:109], v[100:101], -v[108:109]
	v_add_f64 v[110:111], v[102:103], -v[110:111]
	v_add_f64 v[92:93], v[28:29], -v[92:93]
	v_add_f64 v[94:95], v[30:31], -v[94:95]
	v_add_f64 v[96:97], v[88:89], -v[96:97]
	v_add_f64 v[98:99], v[90:91], -v[98:99]
	v_fma_f64 v[40:41], v[40:41], v[190:191], -v[230:231]
	v_fma_f64 v[42:43], v[42:43], v[190:191], v[192:193]
	v_fma_f64 v[44:45], v[44:45], v[194:195], -v[232:233]
	v_fma_f64 v[46:47], v[46:47], v[194:195], v[196:197]
	;; [unrolled: 2-line block ×6, first 2 shown]
	v_add_f64 v[120:121], v[36:37], -v[68:69]
	v_add_f64 v[128:129], v[38:39], -v[70:71]
	;; [unrolled: 1-line block ×8, first 2 shown]
	v_fma_f64 v[82:83], v[24:25], 2.0, -v[104:105]
	v_fma_f64 v[84:85], v[26:27], 2.0, -v[106:107]
	;; [unrolled: 1-line block ×7, first 2 shown]
	v_add_f64 v[142:143], v[16:17], -v[44:45]
	v_add_f64 v[144:145], v[18:19], -v[46:47]
	;; [unrolled: 1-line block ×4, first 2 shown]
	v_fma_f64 v[48:49], v[90:91], 2.0, -v[98:99]
	v_add_f64 v[146:147], v[20:21], -v[56:57]
	v_add_f64 v[148:149], v[22:23], -v[58:59]
	;; [unrolled: 1-line block ×4, first 2 shown]
	v_fma_f64 v[88:89], v[36:37], 2.0, -v[120:121]
	v_fma_f64 v[90:91], v[38:39], 2.0, -v[128:129]
	;; [unrolled: 1-line block ×4, first 2 shown]
	v_add_f64 v[28:29], v[120:121], -v[70:71]
	v_fma_f64 v[102:103], v[32:33], 2.0, -v[131:132]
	v_fma_f64 v[150:151], v[34:35], 2.0, -v[137:138]
	;; [unrolled: 1-line block ×4, first 2 shown]
	v_add_f64 v[36:37], v[131:132], -v[74:75]
	v_add_f64 v[24:25], v[82:83], -v[24:25]
	v_add_f64 v[26:27], v[84:85], -v[26:27]
	v_add_f64 v[32:33], v[86:87], -v[30:31]
	v_add_f64 v[30:31], v[128:129], v[68:69]
	v_fma_f64 v[152:153], v[16:17], 2.0, -v[142:143]
	v_fma_f64 v[154:155], v[18:19], 2.0, -v[144:145]
	v_add_f64 v[16:17], v[104:105], -v[110:111]
	v_add_f64 v[18:19], v[106:107], v[108:109]
	v_fma_f64 v[62:63], v[40:41], 2.0, -v[46:47]
	v_fma_f64 v[64:65], v[42:43], 2.0, -v[44:45]
	v_add_f64 v[34:35], v[100:101], -v[48:49]
	v_add_f64 v[44:45], v[142:143], -v[44:45]
	v_fma_f64 v[156:157], v[20:21], 2.0, -v[146:147]
	v_fma_f64 v[158:159], v[22:23], 2.0, -v[148:149]
	;; [unrolled: 1-line block ×4, first 2 shown]
	v_add_f64 v[20:21], v[92:93], -v[98:99]
	v_add_f64 v[22:23], v[94:95], v[96:97]
	v_add_f64 v[52:53], v[146:147], -v[56:57]
	v_add_f64 v[46:47], v[144:145], v[46:47]
	v_add_f64 v[40:41], v[88:89], -v[38:39]
	v_add_f64 v[42:43], v[90:91], -v[50:51]
	v_add_f64 v[38:39], v[137:138], v[72:73]
	v_fma_f64 v[76:77], v[120:121], 2.0, -v[28:29]
	v_add_f64 v[48:49], v[102:103], -v[58:59]
	v_add_f64 v[50:51], v[150:151], -v[60:61]
	v_fma_f64 v[72:73], v[82:83], 2.0, -v[24:25]
	v_fma_f64 v[74:75], v[84:85], 2.0, -v[26:27]
	v_fma_f64 v[84:85], v[131:132], 2.0, -v[36:37]
	v_fma_f64 v[78:79], v[128:129], 2.0, -v[30:31]
	v_add_f64 v[56:57], v[152:153], -v[62:63]
	v_add_f64 v[58:59], v[154:155], -v[64:65]
	v_fma_f64 v[64:65], v[104:105], 2.0, -v[16:17]
	v_fma_f64 v[82:83], v[100:101], 2.0, -v[34:35]
	v_add_f64 v[60:61], v[156:157], -v[66:67]
	v_add_f64 v[62:63], v[158:159], -v[54:55]
	v_add_f64 v[54:55], v[148:149], v[80:81]
	v_fma_f64 v[66:67], v[106:107], 2.0, -v[18:19]
	v_fma_f64 v[80:81], v[86:87], 2.0, -v[32:33]
	;; [unrolled: 1-line block ×17, first 2 shown]
	ds_store_b128 v130, v[24:27] offset:10816
	ds_store_b128 v130, v[16:19] offset:16224
	ds_store_b128 v130, v[72:75]
	ds_store_b128 v130, v[64:67] offset:5408
	ds_store_b128 v136, v[32:35] offset:10816
	ds_store_b128 v136, v[20:23] offset:16224
	ds_store_b128 v136, v[80:83]
	ds_store_b128 v136, v[68:71] offset:5408
	;; [unrolled: 4-line block ×5, first 2 shown]
	ds_store_b128 v140, v[108:111]
	ds_store_b128 v140, v[100:103] offset:5408
	ds_store_b128 v140, v[60:63] offset:10816
	;; [unrolled: 1-line block ×3, first 2 shown]
	s_and_saveexec_b32 s1, s0
	s_cbranch_execz .LBB0_17
; %bb.16:
	v_mul_i32_i24_e32 v16, 3, v113
	v_mov_b32_e32 v17, 0
	s_delay_alu instid0(VALU_DEP_1) | instskip(NEXT) | instid1(VALU_DEP_1)
	v_lshlrev_b64 v[16:17], 4, v[16:17]
	v_add_co_u32 v16, s0, s8, v16
	s_delay_alu instid0(VALU_DEP_1) | instskip(NEXT) | instid1(VALU_DEP_2)
	v_add_co_ci_u32_e64 v17, s0, s9, v17, s0
	v_add_co_u32 v24, s0, 0x1500, v16
	s_delay_alu instid0(VALU_DEP_1) | instskip(SKIP_1) | instid1(VALU_DEP_1)
	v_add_co_ci_u32_e64 v25, s0, 0, v17, s0
	v_add_co_u32 v20, s0, 0x1000, v16
	v_add_co_ci_u32_e64 v21, s0, 0, v17, s0
	s_clause 0x2
	global_load_b128 v[16:19], v[24:25], off offset:16
	global_load_b128 v[20:23], v[20:21], off offset:1280
	;; [unrolled: 1-line block ×3, first 2 shown]
	s_waitcnt vmcnt(2)
	v_mul_f64 v[28:29], v[8:9], v[18:19]
	s_waitcnt vmcnt(1)
	v_mul_f64 v[30:31], v[6:7], v[22:23]
	v_mul_f64 v[22:23], v[4:5], v[22:23]
	s_waitcnt vmcnt(0)
	v_mul_f64 v[32:33], v[12:13], v[26:27]
	v_mul_f64 v[18:19], v[10:11], v[18:19]
	;; [unrolled: 1-line block ×3, first 2 shown]
	v_fma_f64 v[10:11], v[10:11], v[16:17], v[28:29]
	v_fma_f64 v[4:5], v[4:5], v[20:21], -v[30:31]
	v_fma_f64 v[6:7], v[6:7], v[20:21], v[22:23]
	v_fma_f64 v[14:15], v[14:15], v[24:25], v[32:33]
	v_fma_f64 v[8:9], v[8:9], v[16:17], -v[18:19]
	v_fma_f64 v[12:13], v[12:13], v[24:25], -v[26:27]
	v_add_f64 v[10:11], v[2:3], -v[10:11]
	s_delay_alu instid0(VALU_DEP_4) | instskip(NEXT) | instid1(VALU_DEP_4)
	v_add_f64 v[14:15], v[6:7], -v[14:15]
	v_add_f64 v[8:9], v[0:1], -v[8:9]
	s_delay_alu instid0(VALU_DEP_4) | instskip(NEXT) | instid1(VALU_DEP_4)
	v_add_f64 v[12:13], v[4:5], -v[12:13]
	v_fma_f64 v[16:17], v[2:3], 2.0, -v[10:11]
	s_delay_alu instid0(VALU_DEP_4) | instskip(NEXT) | instid1(VALU_DEP_4)
	v_fma_f64 v[6:7], v[6:7], 2.0, -v[14:15]
	v_fma_f64 v[18:19], v[0:1], 2.0, -v[8:9]
	s_delay_alu instid0(VALU_DEP_4) | instskip(SKIP_1) | instid1(VALU_DEP_4)
	v_fma_f64 v[0:1], v[4:5], 2.0, -v[12:13]
	v_add_f64 v[2:3], v[10:11], v[12:13]
	v_add_f64 v[6:7], v[16:17], -v[6:7]
	s_delay_alu instid0(VALU_DEP_3) | instskip(SKIP_1) | instid1(VALU_DEP_4)
	v_add_f64 v[4:5], v[18:19], -v[0:1]
	v_add_f64 v[0:1], v[8:9], -v[14:15]
	v_fma_f64 v[10:11], v[10:11], 2.0, -v[2:3]
	s_delay_alu instid0(VALU_DEP_4) | instskip(NEXT) | instid1(VALU_DEP_4)
	v_fma_f64 v[14:15], v[16:17], 2.0, -v[6:7]
	v_fma_f64 v[12:13], v[18:19], 2.0, -v[4:5]
	s_delay_alu instid0(VALU_DEP_4)
	v_fma_f64 v[8:9], v[8:9], 2.0, -v[0:1]
	ds_store_b128 v130, v[12:15] offset:4992
	ds_store_b128 v130, v[8:11] offset:10400
	;; [unrolled: 1-line block ×4, first 2 shown]
.LBB0_17:
	s_or_b32 exec_lo, exec_lo, s1
	s_waitcnt lgkmcnt(0)
	s_barrier
	buffer_gl0_inv
	ds_load_b128 v[4:7], v130
	v_lshlrev_b32_e32 v0, 4, v112
	s_add_u32 s1, s8, 0x5460
	s_addc_u32 s4, s9, 0
	s_mov_b32 s5, exec_lo
                                        ; implicit-def: $vgpr2_vgpr3
                                        ; implicit-def: $vgpr8_vgpr9
	s_delay_alu instid0(VALU_DEP_1)
	v_sub_nc_u32_e32 v10, 0, v0
	v_cmpx_ne_u32_e32 0, v112
	s_xor_b32 s5, exec_lo, s5
	s_cbranch_execz .LBB0_19
; %bb.18:
	v_mov_b32_e32 v113, 0
	s_delay_alu instid0(VALU_DEP_1) | instskip(NEXT) | instid1(VALU_DEP_1)
	v_lshlrev_b64 v[0:1], 4, v[112:113]
	v_add_co_u32 v0, s0, s1, v0
	s_delay_alu instid0(VALU_DEP_1)
	v_add_co_ci_u32_e64 v1, s0, s4, v1, s0
	global_load_b128 v[11:14], v[0:1], off
	ds_load_b128 v[0:3], v10 offset:21632
	s_waitcnt lgkmcnt(0)
	v_add_f64 v[8:9], v[4:5], -v[0:1]
	v_add_f64 v[15:16], v[6:7], v[2:3]
	v_add_f64 v[2:3], v[6:7], -v[2:3]
	v_add_f64 v[0:1], v[4:5], v[0:1]
	s_delay_alu instid0(VALU_DEP_4) | instskip(NEXT) | instid1(VALU_DEP_4)
	v_mul_f64 v[6:7], v[8:9], 0.5
	v_mul_f64 v[4:5], v[15:16], 0.5
	s_delay_alu instid0(VALU_DEP_4) | instskip(SKIP_1) | instid1(VALU_DEP_3)
	v_mul_f64 v[2:3], v[2:3], 0.5
	s_waitcnt vmcnt(0)
	v_mul_f64 v[8:9], v[6:7], v[13:14]
	s_delay_alu instid0(VALU_DEP_2) | instskip(SKIP_1) | instid1(VALU_DEP_3)
	v_fma_f64 v[15:16], v[4:5], v[13:14], v[2:3]
	v_fma_f64 v[2:3], v[4:5], v[13:14], -v[2:3]
	v_fma_f64 v[17:18], v[0:1], 0.5, v[8:9]
	v_fma_f64 v[0:1], v[0:1], 0.5, -v[8:9]
	s_delay_alu instid0(VALU_DEP_4) | instskip(NEXT) | instid1(VALU_DEP_4)
	v_fma_f64 v[8:9], -v[11:12], v[6:7], v[15:16]
	v_fma_f64 v[2:3], -v[11:12], v[6:7], v[2:3]
	s_delay_alu instid0(VALU_DEP_4) | instskip(NEXT) | instid1(VALU_DEP_4)
	v_fma_f64 v[13:14], v[4:5], v[11:12], v[17:18]
	v_fma_f64 v[0:1], -v[4:5], v[11:12], v[0:1]
                                        ; implicit-def: $vgpr4_vgpr5
	ds_store_b64 v130, v[13:14]
.LBB0_19:
	s_or_saveexec_b32 s0, s5
	v_lshlrev_b32_e32 v11, 4, v122
	s_delay_alu instid0(VALU_DEP_1)
	v_sub_nc_u32_e32 v13, 0, v11
	scratch_load_b32 v11, off, off offset:28 ; 4-byte Folded Reload
	s_waitcnt vmcnt(0)
	v_sub_nc_u32_e32 v12, 0, v11
	scratch_load_b32 v11, off, off offset:32 ; 4-byte Folded Reload
	s_waitcnt vmcnt(0)
	v_sub_nc_u32_e32 v11, 0, v11
	s_xor_b32 exec_lo, exec_lo, s0
	s_cbranch_execz .LBB0_21
; %bb.20:
	s_waitcnt lgkmcnt(0)
	v_add_f64 v[14:15], v[4:5], v[6:7]
	v_add_f64 v[0:1], v[4:5], -v[6:7]
	v_mov_b32_e32 v6, 0
	v_mov_b32_e32 v8, 0
	;; [unrolled: 1-line block ×3, first 2 shown]
	s_delay_alu instid0(VALU_DEP_2)
	v_mov_b32_e32 v2, v8
	ds_load_b64 v[4:5], v6 offset:10824
	v_mov_b32_e32 v3, v9
	s_waitcnt lgkmcnt(0)
	v_xor_b32_e32 v5, 0x80000000, v5
	ds_store_b64 v130, v[14:15]
	ds_store_b64 v6, v[4:5] offset:10824
.LBB0_21:
	s_or_b32 exec_lo, exec_lo, s0
	v_mov_b32_e32 v117, 0
	s_waitcnt lgkmcnt(0)
	s_delay_alu instid0(VALU_DEP_1) | instskip(SKIP_2) | instid1(VALU_DEP_3)
	v_lshlrev_b64 v[4:5], 4, v[116:117]
	v_add_nc_u32_e32 v116, 0x16c, v112
	v_mov_b32_e32 v128, v117
	v_add_co_u32 v4, s0, s1, v4
	s_delay_alu instid0(VALU_DEP_1) | instskip(NEXT) | instid1(VALU_DEP_3)
	v_add_co_ci_u32_e64 v5, s0, s4, v5, s0
	v_lshlrev_b64 v[14:15], 4, v[127:128]
	v_mov_b32_e32 v127, v117
	global_load_b128 v[4:7], v[4:5], off
	v_add_co_u32 v14, s0, s1, v14
	s_delay_alu instid0(VALU_DEP_1)
	v_add_co_ci_u32_e64 v15, s0, s4, v15, s0
	global_load_b128 v[14:17], v[14:15], off
	ds_store_b64 v130, v[8:9] offset:8
	ds_store_b128 v10, v[0:3] offset:21632
	ds_load_b128 v[0:3], v136
	ds_load_b128 v[18:21], v10 offset:20800
	s_waitcnt lgkmcnt(0)
	v_add_f64 v[8:9], v[0:1], -v[18:19]
	v_add_f64 v[22:23], v[2:3], v[20:21]
	v_add_f64 v[2:3], v[2:3], -v[20:21]
	v_add_f64 v[0:1], v[0:1], v[18:19]
	s_delay_alu instid0(VALU_DEP_4) | instskip(NEXT) | instid1(VALU_DEP_4)
	v_mul_f64 v[8:9], v[8:9], 0.5
	v_mul_f64 v[20:21], v[22:23], 0.5
	s_delay_alu instid0(VALU_DEP_4) | instskip(SKIP_1) | instid1(VALU_DEP_3)
	v_mul_f64 v[2:3], v[2:3], 0.5
	s_waitcnt vmcnt(1)
	v_mul_f64 v[18:19], v[8:9], v[6:7]
	s_delay_alu instid0(VALU_DEP_2) | instskip(SKIP_1) | instid1(VALU_DEP_3)
	v_fma_f64 v[22:23], v[20:21], v[6:7], v[2:3]
	v_fma_f64 v[6:7], v[20:21], v[6:7], -v[2:3]
	v_fma_f64 v[24:25], v[0:1], 0.5, v[18:19]
	v_fma_f64 v[18:19], v[0:1], 0.5, -v[18:19]
	s_delay_alu instid0(VALU_DEP_4) | instskip(NEXT) | instid1(VALU_DEP_4)
	v_fma_f64 v[2:3], -v[4:5], v[8:9], v[22:23]
	v_fma_f64 v[6:7], -v[4:5], v[8:9], v[6:7]
	v_lshlrev_b64 v[8:9], 4, v[126:127]
	v_mov_b32_e32 v126, v117
	s_delay_alu instid0(VALU_DEP_2) | instskip(NEXT) | instid1(VALU_DEP_1)
	v_add_co_u32 v8, s0, s1, v8
	v_add_co_ci_u32_e64 v9, s0, s4, v9, s0
	v_fma_f64 v[0:1], v[20:21], v[4:5], v[24:25]
	v_fma_f64 v[4:5], -v[20:21], v[4:5], v[18:19]
	global_load_b128 v[18:21], v[8:9], off
	ds_store_b128 v136, v[0:3]
	ds_store_b128 v10, v[4:7] offset:20800
	ds_load_b128 v[0:3], v134
	ds_load_b128 v[4:7], v10 offset:19968
	s_waitcnt lgkmcnt(0)
	v_add_f64 v[8:9], v[0:1], -v[4:5]
	v_add_f64 v[22:23], v[2:3], v[6:7]
	v_add_f64 v[2:3], v[2:3], -v[6:7]
	v_add_f64 v[0:1], v[0:1], v[4:5]
	s_delay_alu instid0(VALU_DEP_4) | instskip(NEXT) | instid1(VALU_DEP_4)
	v_mul_f64 v[6:7], v[8:9], 0.5
	v_mul_f64 v[8:9], v[22:23], 0.5
	s_delay_alu instid0(VALU_DEP_4) | instskip(SKIP_1) | instid1(VALU_DEP_3)
	v_mul_f64 v[2:3], v[2:3], 0.5
	s_waitcnt vmcnt(1)
	v_mul_f64 v[4:5], v[6:7], v[16:17]
	s_delay_alu instid0(VALU_DEP_2) | instskip(SKIP_1) | instid1(VALU_DEP_3)
	v_fma_f64 v[22:23], v[8:9], v[16:17], v[2:3]
	v_fma_f64 v[16:17], v[8:9], v[16:17], -v[2:3]
	v_fma_f64 v[24:25], v[0:1], 0.5, v[4:5]
	v_fma_f64 v[4:5], v[0:1], 0.5, -v[4:5]
	s_delay_alu instid0(VALU_DEP_4) | instskip(NEXT) | instid1(VALU_DEP_4)
	v_fma_f64 v[2:3], -v[14:15], v[6:7], v[22:23]
	v_fma_f64 v[6:7], -v[14:15], v[6:7], v[16:17]
	s_delay_alu instid0(VALU_DEP_4) | instskip(NEXT) | instid1(VALU_DEP_4)
	v_fma_f64 v[0:1], v[8:9], v[14:15], v[24:25]
	v_fma_f64 v[4:5], -v[8:9], v[14:15], v[4:5]
	v_lshlrev_b64 v[8:9], 4, v[125:126]
	v_mov_b32_e32 v125, v117
	s_delay_alu instid0(VALU_DEP_2) | instskip(NEXT) | instid1(VALU_DEP_1)
	v_add_co_u32 v8, s0, s1, v8
	v_add_co_ci_u32_e64 v9, s0, s4, v9, s0
	global_load_b128 v[14:17], v[8:9], off
	ds_store_b128 v134, v[0:3]
	ds_store_b128 v10, v[4:7] offset:19968
	ds_load_b128 v[0:3], v141
	ds_load_b128 v[4:7], v10 offset:19136
	s_waitcnt lgkmcnt(0)
	v_add_f64 v[8:9], v[0:1], -v[4:5]
	v_add_f64 v[22:23], v[2:3], v[6:7]
	v_add_f64 v[2:3], v[2:3], -v[6:7]
	v_add_f64 v[0:1], v[0:1], v[4:5]
	s_delay_alu instid0(VALU_DEP_4) | instskip(NEXT) | instid1(VALU_DEP_4)
	v_mul_f64 v[6:7], v[8:9], 0.5
	v_mul_f64 v[8:9], v[22:23], 0.5
	s_delay_alu instid0(VALU_DEP_4) | instskip(SKIP_1) | instid1(VALU_DEP_3)
	v_mul_f64 v[2:3], v[2:3], 0.5
	s_waitcnt vmcnt(1)
	v_mul_f64 v[4:5], v[6:7], v[20:21]
	s_delay_alu instid0(VALU_DEP_2) | instskip(SKIP_1) | instid1(VALU_DEP_3)
	v_fma_f64 v[22:23], v[8:9], v[20:21], v[2:3]
	v_fma_f64 v[20:21], v[8:9], v[20:21], -v[2:3]
	v_fma_f64 v[24:25], v[0:1], 0.5, v[4:5]
	v_fma_f64 v[4:5], v[0:1], 0.5, -v[4:5]
	s_delay_alu instid0(VALU_DEP_4) | instskip(NEXT) | instid1(VALU_DEP_4)
	v_fma_f64 v[2:3], -v[18:19], v[6:7], v[22:23]
	v_fma_f64 v[6:7], -v[18:19], v[6:7], v[20:21]
	s_delay_alu instid0(VALU_DEP_4) | instskip(NEXT) | instid1(VALU_DEP_4)
	v_fma_f64 v[0:1], v[8:9], v[18:19], v[24:25]
	v_fma_f64 v[4:5], -v[8:9], v[18:19], v[4:5]
	v_lshlrev_b64 v[8:9], 4, v[124:125]
	v_mov_b32_e32 v124, v117
	s_delay_alu instid0(VALU_DEP_2) | instskip(NEXT) | instid1(VALU_DEP_1)
	v_add_co_u32 v8, s0, s1, v8
	v_add_co_ci_u32_e64 v9, s0, s4, v9, s0
	;; [unrolled: 33-line block ×3, first 2 shown]
	global_load_b128 v[14:17], v[8:9], off
	ds_store_b128 v135, v[0:3]
	ds_store_b128 v10, v[4:7] offset:18304
	ds_load_b128 v[0:3], v140
	ds_load_b128 v[4:7], v10 offset:17472
	s_waitcnt lgkmcnt(0)
	v_add_f64 v[8:9], v[0:1], -v[4:5]
	v_add_f64 v[22:23], v[2:3], v[6:7]
	v_add_f64 v[2:3], v[2:3], -v[6:7]
	v_add_f64 v[0:1], v[0:1], v[4:5]
	s_delay_alu instid0(VALU_DEP_4) | instskip(NEXT) | instid1(VALU_DEP_4)
	v_mul_f64 v[6:7], v[8:9], 0.5
	v_mul_f64 v[8:9], v[22:23], 0.5
	s_delay_alu instid0(VALU_DEP_4) | instskip(SKIP_1) | instid1(VALU_DEP_3)
	v_mul_f64 v[2:3], v[2:3], 0.5
	s_waitcnt vmcnt(1)
	v_mul_f64 v[4:5], v[6:7], v[20:21]
	s_delay_alu instid0(VALU_DEP_2) | instskip(SKIP_1) | instid1(VALU_DEP_3)
	v_fma_f64 v[22:23], v[8:9], v[20:21], v[2:3]
	v_fma_f64 v[20:21], v[8:9], v[20:21], -v[2:3]
	v_fma_f64 v[24:25], v[0:1], 0.5, v[4:5]
	v_fma_f64 v[4:5], v[0:1], 0.5, -v[4:5]
	s_delay_alu instid0(VALU_DEP_4) | instskip(NEXT) | instid1(VALU_DEP_4)
	v_fma_f64 v[2:3], -v[18:19], v[6:7], v[22:23]
	v_fma_f64 v[6:7], -v[18:19], v[6:7], v[20:21]
	s_delay_alu instid0(VALU_DEP_4) | instskip(NEXT) | instid1(VALU_DEP_4)
	v_fma_f64 v[0:1], v[8:9], v[18:19], v[24:25]
	v_fma_f64 v[4:5], -v[8:9], v[18:19], v[4:5]
	v_lshlrev_b64 v[8:9], 4, v[116:117]
	v_add_nc_u32_e32 v116, 0x1d4, v112
	s_delay_alu instid0(VALU_DEP_2) | instskip(NEXT) | instid1(VALU_DEP_1)
	v_add_co_u32 v8, s0, s1, v8
	v_add_co_ci_u32_e64 v9, s0, s4, v9, s0
	global_load_b128 v[18:21], v[8:9], off
	ds_store_b128 v140, v[0:3]
	ds_store_b128 v10, v[4:7] offset:17472
	ds_load_b128 v[0:3], v139
	ds_load_b128 v[4:7], v10 offset:16640
	s_waitcnt lgkmcnt(0)
	v_add_f64 v[8:9], v[0:1], -v[4:5]
	v_add_f64 v[22:23], v[2:3], v[6:7]
	v_add_f64 v[2:3], v[2:3], -v[6:7]
	v_add_f64 v[0:1], v[0:1], v[4:5]
	s_delay_alu instid0(VALU_DEP_4) | instskip(NEXT) | instid1(VALU_DEP_4)
	v_mul_f64 v[6:7], v[8:9], 0.5
	v_mul_f64 v[8:9], v[22:23], 0.5
	s_delay_alu instid0(VALU_DEP_4) | instskip(SKIP_1) | instid1(VALU_DEP_3)
	v_mul_f64 v[2:3], v[2:3], 0.5
	s_waitcnt vmcnt(1)
	v_mul_f64 v[4:5], v[6:7], v[16:17]
	s_delay_alu instid0(VALU_DEP_2) | instskip(SKIP_1) | instid1(VALU_DEP_3)
	v_fma_f64 v[22:23], v[8:9], v[16:17], v[2:3]
	v_fma_f64 v[16:17], v[8:9], v[16:17], -v[2:3]
	v_fma_f64 v[24:25], v[0:1], 0.5, v[4:5]
	v_fma_f64 v[4:5], v[0:1], 0.5, -v[4:5]
	s_delay_alu instid0(VALU_DEP_4) | instskip(NEXT) | instid1(VALU_DEP_4)
	v_fma_f64 v[2:3], -v[14:15], v[6:7], v[22:23]
	v_fma_f64 v[6:7], -v[14:15], v[6:7], v[16:17]
	s_delay_alu instid0(VALU_DEP_4) | instskip(NEXT) | instid1(VALU_DEP_4)
	v_fma_f64 v[0:1], v[8:9], v[14:15], v[24:25]
	v_fma_f64 v[4:5], -v[8:9], v[14:15], v[4:5]
	v_lshlrev_b64 v[8:9], 4, v[122:123]
	s_delay_alu instid0(VALU_DEP_1) | instskip(NEXT) | instid1(VALU_DEP_1)
	v_add_co_u32 v8, s0, s1, v8
	v_add_co_ci_u32_e64 v9, s0, s4, v9, s0
	global_load_b128 v[14:17], v[8:9], off
	ds_store_b128 v139, v[0:3]
	ds_store_b128 v10, v[4:7] offset:16640
	ds_load_b128 v[0:3], v130 offset:5824
	ds_load_b128 v[4:7], v10 offset:15808
	s_waitcnt lgkmcnt(0)
	v_add_f64 v[8:9], v[0:1], -v[4:5]
	v_add_f64 v[22:23], v[2:3], v[6:7]
	v_add_f64 v[2:3], v[2:3], -v[6:7]
	v_add_f64 v[0:1], v[0:1], v[4:5]
	s_delay_alu instid0(VALU_DEP_4) | instskip(NEXT) | instid1(VALU_DEP_4)
	v_mul_f64 v[6:7], v[8:9], 0.5
	v_mul_f64 v[8:9], v[22:23], 0.5
	s_delay_alu instid0(VALU_DEP_4) | instskip(SKIP_1) | instid1(VALU_DEP_3)
	v_mul_f64 v[2:3], v[2:3], 0.5
	s_waitcnt vmcnt(1)
	v_mul_f64 v[4:5], v[6:7], v[20:21]
	s_delay_alu instid0(VALU_DEP_2) | instskip(SKIP_1) | instid1(VALU_DEP_3)
	v_fma_f64 v[22:23], v[8:9], v[20:21], v[2:3]
	v_fma_f64 v[20:21], v[8:9], v[20:21], -v[2:3]
	v_fma_f64 v[24:25], v[0:1], 0.5, v[4:5]
	v_fma_f64 v[4:5], v[0:1], 0.5, -v[4:5]
	s_delay_alu instid0(VALU_DEP_4) | instskip(NEXT) | instid1(VALU_DEP_4)
	v_fma_f64 v[2:3], -v[18:19], v[6:7], v[22:23]
	v_fma_f64 v[6:7], -v[18:19], v[6:7], v[20:21]
	s_delay_alu instid0(VALU_DEP_4) | instskip(NEXT) | instid1(VALU_DEP_4)
	v_fma_f64 v[0:1], v[8:9], v[18:19], v[24:25]
	v_fma_f64 v[4:5], -v[8:9], v[18:19], v[4:5]
	v_lshlrev_b64 v[8:9], 4, v[116:117]
	v_add_nc_u32_e32 v116, 0x23c, v112
	s_delay_alu instid0(VALU_DEP_2) | instskip(NEXT) | instid1(VALU_DEP_1)
	v_add_co_u32 v8, s0, s1, v8
	v_add_co_ci_u32_e64 v9, s0, s4, v9, s0
	global_load_b128 v[18:21], v[8:9], off
	scratch_load_b32 v8, off, off offset:24 ; 4-byte Folded Reload
	ds_store_b128 v130, v[0:3] offset:5824
	ds_store_b128 v10, v[4:7] offset:15808
	s_waitcnt vmcnt(0)
	v_add_nc_u32_e32 v26, v8, v13
	ds_load_b128 v[0:3], v26
	ds_load_b128 v[4:7], v10 offset:14976
	s_waitcnt lgkmcnt(0)
	v_add_f64 v[8:9], v[0:1], -v[4:5]
	v_add_f64 v[22:23], v[2:3], v[6:7]
	v_add_f64 v[2:3], v[2:3], -v[6:7]
	v_add_f64 v[0:1], v[0:1], v[4:5]
	s_delay_alu instid0(VALU_DEP_4) | instskip(NEXT) | instid1(VALU_DEP_4)
	v_mul_f64 v[6:7], v[8:9], 0.5
	v_mul_f64 v[8:9], v[22:23], 0.5
	s_delay_alu instid0(VALU_DEP_4) | instskip(NEXT) | instid1(VALU_DEP_3)
	v_mul_f64 v[2:3], v[2:3], 0.5
	v_mul_f64 v[4:5], v[6:7], v[16:17]
	s_delay_alu instid0(VALU_DEP_2) | instskip(SKIP_1) | instid1(VALU_DEP_3)
	v_fma_f64 v[22:23], v[8:9], v[16:17], v[2:3]
	v_fma_f64 v[16:17], v[8:9], v[16:17], -v[2:3]
	v_fma_f64 v[24:25], v[0:1], 0.5, v[4:5]
	v_fma_f64 v[4:5], v[0:1], 0.5, -v[4:5]
	s_delay_alu instid0(VALU_DEP_4) | instskip(NEXT) | instid1(VALU_DEP_4)
	v_fma_f64 v[2:3], -v[14:15], v[6:7], v[22:23]
	v_fma_f64 v[6:7], -v[14:15], v[6:7], v[16:17]
	s_delay_alu instid0(VALU_DEP_4) | instskip(NEXT) | instid1(VALU_DEP_4)
	v_fma_f64 v[0:1], v[8:9], v[14:15], v[24:25]
	v_fma_f64 v[4:5], -v[8:9], v[14:15], v[4:5]
	scratch_load_b64 v[8:9], off, off offset:8 ; 8-byte Folded Reload
	s_waitcnt vmcnt(0)
	v_mov_b32_e32 v9, v117
	s_delay_alu instid0(VALU_DEP_1) | instskip(NEXT) | instid1(VALU_DEP_1)
	v_lshlrev_b64 v[8:9], 4, v[8:9]
	v_add_co_u32 v8, s0, s1, v8
	s_delay_alu instid0(VALU_DEP_1)
	v_add_co_ci_u32_e64 v9, s0, s4, v9, s0
	global_load_b128 v[13:16], v[8:9], off
	ds_store_b128 v26, v[0:3]
	ds_store_b128 v10, v[4:7] offset:14976
	ds_load_b128 v[0:3], v130 offset:7488
	ds_load_b128 v[4:7], v10 offset:14144
	s_waitcnt lgkmcnt(0)
	v_add_f64 v[8:9], v[0:1], -v[4:5]
	v_add_f64 v[22:23], v[2:3], v[6:7]
	v_add_f64 v[2:3], v[2:3], -v[6:7]
	v_add_f64 v[0:1], v[0:1], v[4:5]
	s_delay_alu instid0(VALU_DEP_4) | instskip(NEXT) | instid1(VALU_DEP_4)
	v_mul_f64 v[6:7], v[8:9], 0.5
	v_mul_f64 v[8:9], v[22:23], 0.5
	s_delay_alu instid0(VALU_DEP_4) | instskip(NEXT) | instid1(VALU_DEP_3)
	v_mul_f64 v[2:3], v[2:3], 0.5
	v_mul_f64 v[4:5], v[6:7], v[20:21]
	s_delay_alu instid0(VALU_DEP_2) | instskip(SKIP_1) | instid1(VALU_DEP_3)
	v_fma_f64 v[22:23], v[8:9], v[20:21], v[2:3]
	v_fma_f64 v[20:21], v[8:9], v[20:21], -v[2:3]
	v_fma_f64 v[24:25], v[0:1], 0.5, v[4:5]
	v_fma_f64 v[4:5], v[0:1], 0.5, -v[4:5]
	s_delay_alu instid0(VALU_DEP_4) | instskip(NEXT) | instid1(VALU_DEP_4)
	v_fma_f64 v[2:3], -v[18:19], v[6:7], v[22:23]
	v_fma_f64 v[6:7], -v[18:19], v[6:7], v[20:21]
	s_delay_alu instid0(VALU_DEP_4) | instskip(NEXT) | instid1(VALU_DEP_4)
	v_fma_f64 v[0:1], v[8:9], v[18:19], v[24:25]
	v_fma_f64 v[4:5], -v[8:9], v[18:19], v[4:5]
	v_lshlrev_b64 v[8:9], 4, v[116:117]
	s_delay_alu instid0(VALU_DEP_1) | instskip(NEXT) | instid1(VALU_DEP_1)
	v_add_co_u32 v8, s0, s1, v8
	v_add_co_ci_u32_e64 v9, s0, s4, v9, s0
	global_load_b128 v[17:20], v[8:9], off
	scratch_load_b32 v8, off, off offset:20 ; 4-byte Folded Reload
	ds_store_b128 v130, v[0:3] offset:7488
	ds_store_b128 v10, v[4:7] offset:14144
	s_waitcnt vmcnt(0)
	v_add_nc_u32_e32 v25, v8, v12
	ds_load_b128 v[0:3], v25
	ds_load_b128 v[4:7], v10 offset:13312
	s_waitcnt lgkmcnt(0)
	v_add_f64 v[8:9], v[0:1], -v[4:5]
	v_add_f64 v[21:22], v[2:3], v[6:7]
	v_add_f64 v[2:3], v[2:3], -v[6:7]
	v_add_f64 v[0:1], v[0:1], v[4:5]
	s_delay_alu instid0(VALU_DEP_4) | instskip(NEXT) | instid1(VALU_DEP_4)
	v_mul_f64 v[6:7], v[8:9], 0.5
	v_mul_f64 v[8:9], v[21:22], 0.5
	s_delay_alu instid0(VALU_DEP_4) | instskip(NEXT) | instid1(VALU_DEP_3)
	v_mul_f64 v[2:3], v[2:3], 0.5
	v_mul_f64 v[4:5], v[6:7], v[15:16]
	s_delay_alu instid0(VALU_DEP_2) | instskip(SKIP_1) | instid1(VALU_DEP_3)
	v_fma_f64 v[21:22], v[8:9], v[15:16], v[2:3]
	v_fma_f64 v[15:16], v[8:9], v[15:16], -v[2:3]
	v_fma_f64 v[23:24], v[0:1], 0.5, v[4:5]
	v_fma_f64 v[4:5], v[0:1], 0.5, -v[4:5]
	s_delay_alu instid0(VALU_DEP_4) | instskip(NEXT) | instid1(VALU_DEP_4)
	v_fma_f64 v[2:3], -v[13:14], v[6:7], v[21:22]
	v_fma_f64 v[6:7], -v[13:14], v[6:7], v[15:16]
	s_delay_alu instid0(VALU_DEP_4) | instskip(NEXT) | instid1(VALU_DEP_4)
	v_fma_f64 v[0:1], v[8:9], v[13:14], v[23:24]
	v_fma_f64 v[4:5], -v[8:9], v[13:14], v[4:5]
	scratch_load_b64 v[8:9], off, off       ; 8-byte Folded Reload
	s_waitcnt vmcnt(0)
	v_mov_b32_e32 v9, v117
	s_delay_alu instid0(VALU_DEP_1) | instskip(NEXT) | instid1(VALU_DEP_1)
	v_lshlrev_b64 v[8:9], 4, v[8:9]
	v_add_co_u32 v8, s0, s1, v8
	s_delay_alu instid0(VALU_DEP_1)
	v_add_co_ci_u32_e64 v9, s0, s4, v9, s0
	global_load_b128 v[12:15], v[8:9], off
	ds_store_b128 v25, v[0:3]
	ds_store_b128 v10, v[4:7] offset:13312
	ds_load_b128 v[0:3], v130 offset:9152
	ds_load_b128 v[4:7], v10 offset:12480
	s_waitcnt lgkmcnt(0)
	v_add_f64 v[8:9], v[0:1], -v[4:5]
	v_add_f64 v[21:22], v[2:3], v[6:7]
	v_add_f64 v[2:3], v[2:3], -v[6:7]
	v_add_f64 v[0:1], v[0:1], v[4:5]
	s_delay_alu instid0(VALU_DEP_4) | instskip(NEXT) | instid1(VALU_DEP_4)
	v_mul_f64 v[6:7], v[8:9], 0.5
	v_mul_f64 v[8:9], v[21:22], 0.5
	s_delay_alu instid0(VALU_DEP_4) | instskip(NEXT) | instid1(VALU_DEP_3)
	v_mul_f64 v[2:3], v[2:3], 0.5
	v_mul_f64 v[4:5], v[6:7], v[19:20]
	s_delay_alu instid0(VALU_DEP_2) | instskip(SKIP_1) | instid1(VALU_DEP_3)
	v_fma_f64 v[21:22], v[8:9], v[19:20], v[2:3]
	v_fma_f64 v[19:20], v[8:9], v[19:20], -v[2:3]
	v_fma_f64 v[23:24], v[0:1], 0.5, v[4:5]
	v_fma_f64 v[4:5], v[0:1], 0.5, -v[4:5]
	s_delay_alu instid0(VALU_DEP_4) | instskip(NEXT) | instid1(VALU_DEP_4)
	v_fma_f64 v[2:3], -v[17:18], v[6:7], v[21:22]
	v_fma_f64 v[6:7], -v[17:18], v[6:7], v[19:20]
	s_delay_alu instid0(VALU_DEP_4) | instskip(NEXT) | instid1(VALU_DEP_4)
	v_fma_f64 v[0:1], v[8:9], v[17:18], v[23:24]
	v_fma_f64 v[4:5], -v[8:9], v[17:18], v[4:5]
	scratch_load_b32 v8, off, off offset:16 ; 4-byte Folded Reload
	ds_store_b128 v130, v[0:3] offset:9152
	ds_store_b128 v10, v[4:7] offset:12480
	s_waitcnt vmcnt(0)
	v_add_nc_u32_e32 v11, v8, v11
	ds_load_b128 v[0:3], v11
	ds_load_b128 v[4:7], v10 offset:11648
	s_waitcnt lgkmcnt(0)
	v_add_f64 v[8:9], v[0:1], -v[4:5]
	v_add_f64 v[16:17], v[2:3], v[6:7]
	v_add_f64 v[2:3], v[2:3], -v[6:7]
	v_add_f64 v[0:1], v[0:1], v[4:5]
	s_delay_alu instid0(VALU_DEP_4) | instskip(NEXT) | instid1(VALU_DEP_4)
	v_mul_f64 v[6:7], v[8:9], 0.5
	v_mul_f64 v[8:9], v[16:17], 0.5
	s_delay_alu instid0(VALU_DEP_4) | instskip(NEXT) | instid1(VALU_DEP_3)
	v_mul_f64 v[2:3], v[2:3], 0.5
	v_mul_f64 v[4:5], v[6:7], v[14:15]
	s_delay_alu instid0(VALU_DEP_2) | instskip(SKIP_1) | instid1(VALU_DEP_3)
	v_fma_f64 v[16:17], v[8:9], v[14:15], v[2:3]
	v_fma_f64 v[14:15], v[8:9], v[14:15], -v[2:3]
	v_fma_f64 v[18:19], v[0:1], 0.5, v[4:5]
	v_fma_f64 v[4:5], v[0:1], 0.5, -v[4:5]
	s_delay_alu instid0(VALU_DEP_4) | instskip(NEXT) | instid1(VALU_DEP_4)
	v_fma_f64 v[2:3], -v[12:13], v[6:7], v[16:17]
	v_fma_f64 v[6:7], -v[12:13], v[6:7], v[14:15]
	s_delay_alu instid0(VALU_DEP_4) | instskip(NEXT) | instid1(VALU_DEP_4)
	v_fma_f64 v[0:1], v[8:9], v[12:13], v[18:19]
	v_fma_f64 v[4:5], -v[8:9], v[12:13], v[4:5]
	ds_store_b128 v11, v[0:3]
	ds_store_b128 v10, v[4:7] offset:11648
	s_waitcnt lgkmcnt(0)
	s_barrier
	buffer_gl0_inv
	s_and_saveexec_b32 s0, vcc_lo
	s_cbranch_execz .LBB0_24
; %bb.22:
	v_mul_lo_u32 v2, s3, v118
	v_mul_lo_u32 v3, s2, v119
	v_mad_u64_u32 v[0:1], null, s2, v118, 0
	v_lshl_add_u32 v28, v112, 4, 0
	v_dual_mov_b32 v113, v117 :: v_dual_add_nc_u32 v116, 52, v112
	v_lshlrev_b64 v[10:11], 4, v[114:115]
	s_delay_alu instid0(VALU_DEP_4)
	v_add3_u32 v1, v1, v3, v2
	ds_load_b128 v[2:5], v28
	ds_load_b128 v[6:9], v28 offset:832
	v_lshlrev_b64 v[12:13], 4, v[112:113]
	v_lshlrev_b64 v[14:15], 4, v[116:117]
	v_add_nc_u32_e32 v116, 0x68, v112
	v_lshlrev_b64 v[0:1], 4, v[0:1]
	s_delay_alu instid0(VALU_DEP_1) | instskip(NEXT) | instid1(VALU_DEP_2)
	v_add_co_u32 v0, vcc_lo, s6, v0
	v_add_co_ci_u32_e32 v1, vcc_lo, s7, v1, vcc_lo
	s_delay_alu instid0(VALU_DEP_2) | instskip(NEXT) | instid1(VALU_DEP_2)
	v_add_co_u32 v0, vcc_lo, v0, v10
	v_add_co_ci_u32_e32 v1, vcc_lo, v1, v11, vcc_lo
	s_delay_alu instid0(VALU_DEP_2) | instskip(NEXT) | instid1(VALU_DEP_2)
	v_add_co_u32 v10, vcc_lo, v0, v12
	v_add_co_ci_u32_e32 v11, vcc_lo, v1, v13, vcc_lo
	v_add_co_u32 v12, vcc_lo, v0, v14
	v_add_co_ci_u32_e32 v13, vcc_lo, v1, v15, vcc_lo
	v_lshlrev_b64 v[14:15], 4, v[116:117]
	v_add_nc_u32_e32 v116, 0x9c, v112
	s_waitcnt lgkmcnt(1)
	global_store_b128 v[10:11], v[2:5], off
	s_waitcnt lgkmcnt(0)
	global_store_b128 v[12:13], v[6:9], off
	ds_load_b128 v[2:5], v28 offset:1664
	ds_load_b128 v[6:9], v28 offset:2496
	v_add_co_u32 v20, vcc_lo, v0, v14
	v_lshlrev_b64 v[18:19], 4, v[116:117]
	v_add_nc_u32_e32 v116, 0xd0, v112
	v_add_co_ci_u32_e32 v21, vcc_lo, v1, v15, vcc_lo
	ds_load_b128 v[10:13], v28 offset:3328
	ds_load_b128 v[14:17], v28 offset:4160
	v_lshlrev_b64 v[22:23], 4, v[116:117]
	v_add_nc_u32_e32 v116, 0x104, v112
	v_add_co_u32 v18, vcc_lo, v0, v18
	v_add_co_ci_u32_e32 v19, vcc_lo, v1, v19, vcc_lo
	s_delay_alu instid0(VALU_DEP_3) | instskip(SKIP_3) | instid1(VALU_DEP_4)
	v_lshlrev_b64 v[24:25], 4, v[116:117]
	v_add_nc_u32_e32 v116, 0x138, v112
	v_add_co_u32 v22, vcc_lo, v0, v22
	v_add_co_ci_u32_e32 v23, vcc_lo, v1, v23, vcc_lo
	v_add_co_u32 v24, vcc_lo, v0, v24
	s_delay_alu instid0(VALU_DEP_4)
	v_lshlrev_b64 v[26:27], 4, v[116:117]
	v_add_nc_u32_e32 v116, 0x16c, v112
	v_add_co_ci_u32_e32 v25, vcc_lo, v1, v25, vcc_lo
	s_waitcnt lgkmcnt(3)
	global_store_b128 v[20:21], v[2:5], off
	s_waitcnt lgkmcnt(2)
	global_store_b128 v[18:19], v[6:9], off
	s_waitcnt lgkmcnt(1)
	global_store_b128 v[22:23], v[10:13], off
	s_waitcnt lgkmcnt(0)
	global_store_b128 v[24:25], v[14:17], off
	ds_load_b128 v[2:5], v28 offset:4992
	ds_load_b128 v[6:9], v28 offset:5824
	v_lshlrev_b64 v[18:19], 4, v[116:117]
	v_add_nc_u32_e32 v116, 0x1a0, v112
	ds_load_b128 v[10:13], v28 offset:6656
	ds_load_b128 v[14:17], v28 offset:7488
	v_add_co_u32 v20, vcc_lo, v0, v26
	v_add_co_ci_u32_e32 v21, vcc_lo, v1, v27, vcc_lo
	v_lshlrev_b64 v[22:23], 4, v[116:117]
	v_add_nc_u32_e32 v116, 0x1d4, v112
	v_add_co_u32 v18, vcc_lo, v0, v18
	v_add_co_ci_u32_e32 v19, vcc_lo, v1, v19, vcc_lo
	s_delay_alu instid0(VALU_DEP_3) | instskip(SKIP_3) | instid1(VALU_DEP_4)
	v_lshlrev_b64 v[24:25], 4, v[116:117]
	v_add_nc_u32_e32 v116, 0x208, v112
	v_add_co_u32 v22, vcc_lo, v0, v22
	v_add_co_ci_u32_e32 v23, vcc_lo, v1, v23, vcc_lo
	v_add_co_u32 v24, vcc_lo, v0, v24
	s_delay_alu instid0(VALU_DEP_4)
	v_lshlrev_b64 v[26:27], 4, v[116:117]
	v_add_nc_u32_e32 v116, 0x23c, v112
	v_add_co_ci_u32_e32 v25, vcc_lo, v1, v25, vcc_lo
	s_waitcnt lgkmcnt(3)
	global_store_b128 v[20:21], v[2:5], off
	s_waitcnt lgkmcnt(2)
	global_store_b128 v[18:19], v[6:9], off
	s_waitcnt lgkmcnt(1)
	global_store_b128 v[22:23], v[10:13], off
	s_waitcnt lgkmcnt(0)
	global_store_b128 v[24:25], v[14:17], off
	ds_load_b128 v[2:5], v28 offset:8320
	ds_load_b128 v[6:9], v28 offset:9152
	v_lshlrev_b64 v[18:19], 4, v[116:117]
	v_add_nc_u32_e32 v116, 0x270, v112
	ds_load_b128 v[10:13], v28 offset:9984
	ds_load_b128 v[14:17], v28 offset:10816
	v_add_co_u32 v20, vcc_lo, v0, v26
	v_add_co_ci_u32_e32 v21, vcc_lo, v1, v27, vcc_lo
	;; [unrolled: 30-line block ×4, first 2 shown]
	v_lshlrev_b64 v[22:23], 4, v[116:117]
	v_add_nc_u32_e32 v116, 0x444, v112
	v_add_co_u32 v18, vcc_lo, v0, v18
	v_add_co_ci_u32_e32 v19, vcc_lo, v1, v19, vcc_lo
	s_delay_alu instid0(VALU_DEP_3) | instskip(SKIP_3) | instid1(VALU_DEP_3)
	v_lshlrev_b64 v[24:25], 4, v[116:117]
	v_add_nc_u32_e32 v116, 0x478, v112
	v_add_co_u32 v22, vcc_lo, v0, v22
	v_add_co_ci_u32_e32 v23, vcc_lo, v1, v23, vcc_lo
	v_lshlrev_b64 v[26:27], 4, v[116:117]
	v_add_nc_u32_e32 v116, 0x4ac, v112
	v_add_co_u32 v24, vcc_lo, v0, v24
	v_add_co_ci_u32_e32 v25, vcc_lo, v1, v25, vcc_lo
	s_waitcnt lgkmcnt(3)
	global_store_b128 v[20:21], v[2:5], off
	s_waitcnt lgkmcnt(2)
	global_store_b128 v[18:19], v[6:9], off
	;; [unrolled: 2-line block ×4, first 2 shown]
	v_lshlrev_b64 v[20:21], 4, v[116:117]
	v_add_nc_u32_e32 v116, 0x4e0, v112
	ds_load_b128 v[2:5], v28 offset:18304
	ds_load_b128 v[6:9], v28 offset:19136
	;; [unrolled: 1-line block ×4, first 2 shown]
	v_add_co_u32 v18, vcc_lo, v0, v26
	v_add_co_ci_u32_e32 v19, vcc_lo, v1, v27, vcc_lo
	v_lshlrev_b64 v[22:23], 4, v[116:117]
	v_add_nc_u32_e32 v116, 0x514, v112
	v_add_co_u32 v20, vcc_lo, v0, v20
	v_add_co_ci_u32_e32 v21, vcc_lo, v1, v21, vcc_lo
	s_delay_alu instid0(VALU_DEP_3) | instskip(SKIP_2) | instid1(VALU_DEP_3)
	v_lshlrev_b64 v[24:25], 4, v[116:117]
	v_add_co_u32 v22, vcc_lo, v0, v22
	v_add_co_ci_u32_e32 v23, vcc_lo, v1, v23, vcc_lo
	v_add_co_u32 v24, vcc_lo, v0, v24
	s_delay_alu instid0(VALU_DEP_4)
	v_add_co_ci_u32_e32 v25, vcc_lo, v1, v25, vcc_lo
	v_cmp_eq_u32_e32 vcc_lo, 51, v112
	s_waitcnt lgkmcnt(3)
	global_store_b128 v[18:19], v[2:5], off
	s_waitcnt lgkmcnt(2)
	global_store_b128 v[20:21], v[6:9], off
	;; [unrolled: 2-line block ×4, first 2 shown]
	s_and_b32 exec_lo, exec_lo, vcc_lo
	s_cbranch_execz .LBB0_24
; %bb.23:
	v_mov_b32_e32 v2, 0
	v_add_co_u32 v0, vcc_lo, 0x5000, v0
	v_add_co_ci_u32_e32 v1, vcc_lo, 0, v1, vcc_lo
	ds_load_b128 v[2:5], v2 offset:21632
	s_waitcnt lgkmcnt(0)
	global_store_b128 v[0:1], v[2:5], off offset:1152
.LBB0_24:
	s_nop 0
	s_sendmsg sendmsg(MSG_DEALLOC_VGPRS)
	s_endpgm
	.section	.rodata,"a",@progbits
	.p2align	6, 0x0
	.amdhsa_kernel fft_rtc_fwd_len1352_factors_2_13_13_4_wgs_52_tpt_52_halfLds_dp_op_CI_CI_unitstride_sbrr_R2C_dirReg
		.amdhsa_group_segment_fixed_size 0
		.amdhsa_private_segment_fixed_size 40
		.amdhsa_kernarg_size 104
		.amdhsa_user_sgpr_count 15
		.amdhsa_user_sgpr_dispatch_ptr 0
		.amdhsa_user_sgpr_queue_ptr 0
		.amdhsa_user_sgpr_kernarg_segment_ptr 1
		.amdhsa_user_sgpr_dispatch_id 0
		.amdhsa_user_sgpr_private_segment_size 0
		.amdhsa_wavefront_size32 1
		.amdhsa_uses_dynamic_stack 0
		.amdhsa_enable_private_segment 1
		.amdhsa_system_sgpr_workgroup_id_x 1
		.amdhsa_system_sgpr_workgroup_id_y 0
		.amdhsa_system_sgpr_workgroup_id_z 0
		.amdhsa_system_sgpr_workgroup_info 0
		.amdhsa_system_vgpr_workitem_id 0
		.amdhsa_next_free_vgpr 256
		.amdhsa_next_free_sgpr 46
		.amdhsa_reserve_vcc 1
		.amdhsa_float_round_mode_32 0
		.amdhsa_float_round_mode_16_64 0
		.amdhsa_float_denorm_mode_32 3
		.amdhsa_float_denorm_mode_16_64 3
		.amdhsa_dx10_clamp 1
		.amdhsa_ieee_mode 1
		.amdhsa_fp16_overflow 0
		.amdhsa_workgroup_processor_mode 1
		.amdhsa_memory_ordered 1
		.amdhsa_forward_progress 0
		.amdhsa_shared_vgpr_count 0
		.amdhsa_exception_fp_ieee_invalid_op 0
		.amdhsa_exception_fp_denorm_src 0
		.amdhsa_exception_fp_ieee_div_zero 0
		.amdhsa_exception_fp_ieee_overflow 0
		.amdhsa_exception_fp_ieee_underflow 0
		.amdhsa_exception_fp_ieee_inexact 0
		.amdhsa_exception_int_div_zero 0
	.end_amdhsa_kernel
	.text
.Lfunc_end0:
	.size	fft_rtc_fwd_len1352_factors_2_13_13_4_wgs_52_tpt_52_halfLds_dp_op_CI_CI_unitstride_sbrr_R2C_dirReg, .Lfunc_end0-fft_rtc_fwd_len1352_factors_2_13_13_4_wgs_52_tpt_52_halfLds_dp_op_CI_CI_unitstride_sbrr_R2C_dirReg
                                        ; -- End function
	.section	.AMDGPU.csdata,"",@progbits
; Kernel info:
; codeLenInByte = 28912
; NumSgprs: 48
; NumVgprs: 256
; ScratchSize: 40
; MemoryBound: 0
; FloatMode: 240
; IeeeMode: 1
; LDSByteSize: 0 bytes/workgroup (compile time only)
; SGPRBlocks: 5
; VGPRBlocks: 31
; NumSGPRsForWavesPerEU: 48
; NumVGPRsForWavesPerEU: 256
; Occupancy: 5
; WaveLimiterHint : 1
; COMPUTE_PGM_RSRC2:SCRATCH_EN: 1
; COMPUTE_PGM_RSRC2:USER_SGPR: 15
; COMPUTE_PGM_RSRC2:TRAP_HANDLER: 0
; COMPUTE_PGM_RSRC2:TGID_X_EN: 1
; COMPUTE_PGM_RSRC2:TGID_Y_EN: 0
; COMPUTE_PGM_RSRC2:TGID_Z_EN: 0
; COMPUTE_PGM_RSRC2:TIDIG_COMP_CNT: 0
	.text
	.p2alignl 7, 3214868480
	.fill 96, 4, 3214868480
	.type	__hip_cuid_a59d8eca2f3aa9c0,@object ; @__hip_cuid_a59d8eca2f3aa9c0
	.section	.bss,"aw",@nobits
	.globl	__hip_cuid_a59d8eca2f3aa9c0
__hip_cuid_a59d8eca2f3aa9c0:
	.byte	0                               ; 0x0
	.size	__hip_cuid_a59d8eca2f3aa9c0, 1

	.ident	"AMD clang version 19.0.0git (https://github.com/RadeonOpenCompute/llvm-project roc-6.4.0 25133 c7fe45cf4b819c5991fe208aaa96edf142730f1d)"
	.section	".note.GNU-stack","",@progbits
	.addrsig
	.addrsig_sym __hip_cuid_a59d8eca2f3aa9c0
	.amdgpu_metadata
---
amdhsa.kernels:
  - .args:
      - .actual_access:  read_only
        .address_space:  global
        .offset:         0
        .size:           8
        .value_kind:     global_buffer
      - .offset:         8
        .size:           8
        .value_kind:     by_value
      - .actual_access:  read_only
        .address_space:  global
        .offset:         16
        .size:           8
        .value_kind:     global_buffer
      - .actual_access:  read_only
        .address_space:  global
        .offset:         24
        .size:           8
        .value_kind:     global_buffer
      - .actual_access:  read_only
        .address_space:  global
        .offset:         32
        .size:           8
        .value_kind:     global_buffer
      - .offset:         40
        .size:           8
        .value_kind:     by_value
      - .actual_access:  read_only
        .address_space:  global
        .offset:         48
        .size:           8
        .value_kind:     global_buffer
      - .actual_access:  read_only
        .address_space:  global
        .offset:         56
        .size:           8
        .value_kind:     global_buffer
      - .offset:         64
        .size:           4
        .value_kind:     by_value
      - .actual_access:  read_only
        .address_space:  global
        .offset:         72
        .size:           8
        .value_kind:     global_buffer
      - .actual_access:  read_only
        .address_space:  global
        .offset:         80
        .size:           8
        .value_kind:     global_buffer
      - .actual_access:  read_only
        .address_space:  global
        .offset:         88
        .size:           8
        .value_kind:     global_buffer
      - .actual_access:  write_only
        .address_space:  global
        .offset:         96
        .size:           8
        .value_kind:     global_buffer
    .group_segment_fixed_size: 0
    .kernarg_segment_align: 8
    .kernarg_segment_size: 104
    .language:       OpenCL C
    .language_version:
      - 2
      - 0
    .max_flat_workgroup_size: 52
    .name:           fft_rtc_fwd_len1352_factors_2_13_13_4_wgs_52_tpt_52_halfLds_dp_op_CI_CI_unitstride_sbrr_R2C_dirReg
    .private_segment_fixed_size: 40
    .sgpr_count:     48
    .sgpr_spill_count: 0
    .symbol:         fft_rtc_fwd_len1352_factors_2_13_13_4_wgs_52_tpt_52_halfLds_dp_op_CI_CI_unitstride_sbrr_R2C_dirReg.kd
    .uniform_work_group_size: 1
    .uses_dynamic_stack: false
    .vgpr_count:     256
    .vgpr_spill_count: 9
    .wavefront_size: 32
    .workgroup_processor_mode: 1
amdhsa.target:   amdgcn-amd-amdhsa--gfx1100
amdhsa.version:
  - 1
  - 2
...

	.end_amdgpu_metadata
